;; amdgpu-corpus repo=ROCm/rocFFT kind=compiled arch=gfx1201 opt=O3
	.text
	.amdgcn_target "amdgcn-amd-amdhsa--gfx1201"
	.amdhsa_code_object_version 6
	.protected	bluestein_single_fwd_len221_dim1_half_op_CI_CI ; -- Begin function bluestein_single_fwd_len221_dim1_half_op_CI_CI
	.globl	bluestein_single_fwd_len221_dim1_half_op_CI_CI
	.p2align	8
	.type	bluestein_single_fwd_len221_dim1_half_op_CI_CI,@function
bluestein_single_fwd_len221_dim1_half_op_CI_CI: ; @bluestein_single_fwd_len221_dim1_half_op_CI_CI
; %bb.0:
	s_load_b128 s[4:7], s[0:1], 0x28
	v_mul_u32_u24_e32 v1, 0xf10, v0
	s_mov_b32 s2, exec_lo
	s_delay_alu instid0(VALU_DEP_1) | instskip(NEXT) | instid1(VALU_DEP_1)
	v_lshrrev_b32_e32 v1, 16, v1
	v_mad_co_u64_u32 v[12:13], null, ttmp9, 7, v[1:2]
	v_mov_b32_e32 v13, 0
	s_wait_kmcnt 0x0
	s_delay_alu instid0(VALU_DEP_1)
	v_cmpx_gt_u64_e64 s[4:5], v[12:13]
	s_cbranch_execz .LBB0_15
; %bb.1:
	v_mul_hi_u32 v2, 0x24924925, v12
	v_mul_lo_u16 v1, v1, 17
	s_clause 0x1
	s_load_b64 s[12:13], s[0:1], 0x0
	s_load_b64 s[14:15], s[0:1], 0x38
	s_delay_alu instid0(VALU_DEP_1) | instskip(NEXT) | instid1(VALU_DEP_3)
	v_sub_nc_u16 v0, v0, v1
	v_sub_nc_u32_e32 v3, v12, v2
	s_delay_alu instid0(VALU_DEP_2) | instskip(SKIP_1) | instid1(VALU_DEP_3)
	v_and_b32_e32 v31, 0xffff, v0
	v_cmp_gt_u16_e32 vcc_lo, 13, v0
	v_lshrrev_b32_e32 v3, 1, v3
	s_delay_alu instid0(VALU_DEP_3) | instskip(SKIP_1) | instid1(VALU_DEP_3)
	v_lshlrev_b32_e32 v30, 2, v31
	v_or_b32_e32 v29, 0xd0, v31
	v_add_nc_u32_e32 v2, v3, v2
	s_delay_alu instid0(VALU_DEP_1) | instskip(NEXT) | instid1(VALU_DEP_1)
	v_lshrrev_b32_e32 v2, 2, v2
	v_mul_lo_u32 v2, v2, 7
	s_delay_alu instid0(VALU_DEP_1) | instskip(NEXT) | instid1(VALU_DEP_1)
	v_sub_nc_u32_e32 v1, v12, v2
	v_mul_u32_u24_e32 v15, 0xdd, v1
	s_delay_alu instid0(VALU_DEP_1)
	v_lshlrev_b32_e32 v32, 2, v15
	s_and_saveexec_b32 s3, vcc_lo
	s_cbranch_execz .LBB0_3
; %bb.2:
	s_load_b64 s[4:5], s[0:1], 0x18
	s_wait_kmcnt 0x0
	s_load_b128 s[8:11], s[4:5], 0x0
	s_clause 0x7
	global_load_b32 v10, v30, s[12:13]
	global_load_b32 v11, v30, s[12:13] offset:52
	global_load_b32 v13, v30, s[12:13] offset:104
	;; [unrolled: 1-line block ×7, first 2 shown]
	s_wait_kmcnt 0x0
	v_mad_co_u64_u32 v[0:1], null, s10, v12, 0
	v_mad_co_u64_u32 v[2:3], null, s8, v31, 0
	;; [unrolled: 1-line block ×3, first 2 shown]
	s_mul_u64 s[4:5], s[8:9], 52
	s_delay_alu instid0(VALU_DEP_2) | instskip(NEXT) | instid1(VALU_DEP_2)
	v_mad_co_u64_u32 v[6:7], null, s11, v12, v[1:2]
	v_mad_co_u64_u32 v[7:8], null, s9, v31, v[3:4]
	s_delay_alu instid0(VALU_DEP_2) | instskip(SKIP_1) | instid1(VALU_DEP_3)
	v_mad_co_u64_u32 v[8:9], null, s9, v29, v[5:6]
	v_mov_b32_e32 v1, v6
	v_mov_b32_e32 v3, v7
	s_clause 0x7
	global_load_b32 v6, v30, s[12:13] offset:416
	global_load_b32 v9, v30, s[12:13] offset:468
	global_load_b32 v20, v30, s[12:13] offset:520
	global_load_b32 v21, v30, s[12:13] offset:572
	global_load_b32 v22, v30, s[12:13] offset:624
	global_load_b32 v23, v30, s[12:13] offset:676
	global_load_b32 v24, v30, s[12:13] offset:728
	global_load_b32 v7, v30, s[12:13] offset:832
	v_lshlrev_b64_e32 v[0:1], 2, v[0:1]
	v_mov_b32_e32 v5, v8
	v_lshlrev_b64_e32 v[2:3], 2, v[2:3]
	s_delay_alu instid0(VALU_DEP_3) | instskip(NEXT) | instid1(VALU_DEP_1)
	v_add_co_u32 v8, s2, s6, v0
	v_add_co_ci_u32_e64 v25, s2, s7, v1, s2
	s_delay_alu instid0(VALU_DEP_4) | instskip(NEXT) | instid1(VALU_DEP_3)
	v_lshlrev_b64_e32 v[0:1], 2, v[4:5]
	v_add_co_u32 v2, s2, v8, v2
	s_wait_alu 0xf1ff
	s_delay_alu instid0(VALU_DEP_3) | instskip(NEXT) | instid1(VALU_DEP_3)
	v_add_co_ci_u32_e64 v3, s2, v25, v3, s2
	v_add_co_u32 v0, s2, v8, v0
	s_wait_alu 0xf1ff
	v_add_co_ci_u32_e64 v1, s2, v25, v1, s2
	s_wait_alu 0xfffe
	v_add_co_u32 v4, s2, v2, s4
	s_wait_alu 0xf1ff
	v_add_co_ci_u32_e64 v5, s2, s5, v3, s2
	global_load_b32 v8, v[2:3], off
	global_load_b32 v25, v30, s[12:13] offset:780
	s_clause 0x1
	global_load_b32 v26, v[0:1], off
	global_load_b32 v27, v[4:5], off
	v_add_co_u32 v0, s2, v4, s4
	s_wait_alu 0xf1ff
	v_add_co_ci_u32_e64 v1, s2, s5, v5, s2
	s_delay_alu instid0(VALU_DEP_2) | instskip(SKIP_1) | instid1(VALU_DEP_2)
	v_add_co_u32 v2, s2, v0, s4
	s_wait_alu 0xf1ff
	v_add_co_ci_u32_e64 v3, s2, s5, v1, s2
	global_load_b32 v4, v[0:1], off
	v_add_co_u32 v0, s2, v2, s4
	s_wait_alu 0xf1ff
	v_add_co_ci_u32_e64 v1, s2, s5, v3, s2
	s_clause 0x1
	global_load_b32 v5, v[2:3], off
	global_load_b32 v28, v[0:1], off
	v_add_co_u32 v0, s2, v0, s4
	s_wait_alu 0xf1ff
	v_add_co_ci_u32_e64 v1, s2, s5, v1, s2
	s_delay_alu instid0(VALU_DEP_2) | instskip(SKIP_1) | instid1(VALU_DEP_2)
	v_add_co_u32 v2, s2, v0, s4
	s_wait_alu 0xf1ff
	v_add_co_ci_u32_e64 v3, s2, s5, v1, s2
	global_load_b32 v33, v[0:1], off
	global_load_b32 v34, v[2:3], off
	v_add_co_u32 v0, s2, v2, s4
	s_wait_alu 0xf1ff
	v_add_co_ci_u32_e64 v1, s2, s5, v3, s2
	s_delay_alu instid0(VALU_DEP_2) | instskip(SKIP_1) | instid1(VALU_DEP_2)
	v_add_co_u32 v2, s2, v0, s4
	s_wait_alu 0xf1ff
	v_add_co_ci_u32_e64 v3, s2, s5, v1, s2
	global_load_b32 v35, v[0:1], off
	v_add_co_u32 v0, s2, v2, s4
	s_wait_alu 0xf1ff
	v_add_co_ci_u32_e64 v1, s2, s5, v3, s2
	global_load_b32 v36, v[2:3], off
	global_load_b32 v37, v[0:1], off
	v_add_co_u32 v0, s2, v0, s4
	s_wait_alu 0xf1ff
	v_add_co_ci_u32_e64 v1, s2, s5, v1, s2
	s_delay_alu instid0(VALU_DEP_2) | instskip(SKIP_1) | instid1(VALU_DEP_2)
	v_add_co_u32 v2, s2, v0, s4
	s_wait_alu 0xf1ff
	v_add_co_ci_u32_e64 v3, s2, s5, v1, s2
	global_load_b32 v38, v[0:1], off
	v_add_co_u32 v0, s2, v2, s4
	s_wait_alu 0xf1ff
	v_add_co_ci_u32_e64 v1, s2, s5, v3, s2
	global_load_b32 v39, v[2:3], off
	;; [unrolled: 4-line block ×5, first 2 shown]
	global_load_b32 v1, v[2:3], off
	v_lshl_add_u32 v2, v31, 2, v32
	v_add_nc_u32_e32 v3, v32, v30
	s_wait_loadcnt 0x21
	v_lshrrev_b32_e32 v42, 16, v10
	s_wait_loadcnt 0x20
	v_lshrrev_b32_e32 v43, 16, v11
	;; [unrolled: 2-line block ×17, first 2 shown]
	v_mul_f16_e32 v59, v42, v8
	s_wait_loadcnt 0xf
	v_lshrrev_b32_e32 v61, 16, v26
	v_mul_f16_e32 v62, v57, v26
	s_wait_loadcnt 0xe
	v_mul_f16_e32 v63, v43, v27
	v_mul_f16_e32 v42, v42, v58
	v_fma_f16 v58, v10, v58, -v59
	v_lshrrev_b32_e32 v59, 16, v27
	v_mul_f16_e32 v57, v57, v61
	v_fma_f16 v61, v7, v61, -v62
	v_fmac_f16_e32 v42, v10, v8
	v_lshrrev_b32_e32 v60, 16, v25
	v_mul_f16_e32 v8, v43, v59
	s_wait_loadcnt 0xd
	v_lshrrev_b32_e32 v43, 16, v4
	v_fma_f16 v10, v11, v59, -v63
	v_mul_f16_e32 v59, v44, v4
	v_fmac_f16_e32 v57, v7, v26
	v_pack_b32_f16 v7, v42, v58
	v_fmac_f16_e32 v8, v11, v27
	v_mul_f16_e32 v11, v44, v43
	s_wait_loadcnt 0xc
	v_lshrrev_b32_e32 v27, 16, v5
	v_fma_f16 v26, v13, v43, -v59
	v_mul_f16_e32 v42, v45, v5
	ds_store_b32 v2, v7
	v_pack_b32_f16 v2, v8, v10
	v_fmac_f16_e32 v11, v13, v4
	v_mul_f16_e32 v4, v45, v27
	s_wait_loadcnt 0xb
	v_lshrrev_b32_e32 v7, 16, v28
	v_mul_f16_e32 v8, v46, v28
	v_fma_f16 v10, v14, v27, -v42
	v_pack_b32_f16 v11, v11, v26
	v_fmac_f16_e32 v4, v14, v5
	v_mul_f16_e32 v5, v46, v7
	v_fma_f16 v7, v16, v7, -v8
	s_wait_loadcnt 0xa
	v_lshrrev_b32_e32 v8, 16, v33
	v_mul_f16_e32 v13, v47, v33
	ds_store_2addr_b32 v3, v2, v11 offset0:13 offset1:26
	v_pack_b32_f16 v2, v4, v10
	v_fmac_f16_e32 v5, v16, v28
	v_mul_f16_e32 v4, v47, v8
	s_wait_loadcnt 0x9
	v_lshrrev_b32_e32 v10, 16, v34
	v_mul_f16_e32 v11, v48, v34
	v_fma_f16 v8, v17, v8, -v13
	v_pack_b32_f16 v5, v5, v7
	v_fmac_f16_e32 v4, v17, v33
	v_mul_f16_e32 v7, v48, v10
	v_fma_f16 v10, v18, v10, -v11
	s_wait_loadcnt 0x8
	v_lshrrev_b32_e32 v11, 16, v35
	v_mul_f16_e32 v13, v49, v35
	ds_store_2addr_b32 v3, v2, v5 offset0:39 offset1:52
	v_pack_b32_f16 v2, v4, v8
	v_fmac_f16_e32 v7, v18, v34
	v_mul_f16_e32 v4, v49, v11
	s_wait_loadcnt 0x7
	v_lshrrev_b32_e32 v5, 16, v36
	v_mul_f16_e32 v8, v50, v36
	v_fma_f16 v11, v19, v11, -v13
	v_pack_b32_f16 v7, v7, v10
	v_fmac_f16_e32 v4, v19, v35
	v_mul_f16_e32 v10, v50, v5
	v_fma_f16 v5, v6, v5, -v8
	s_wait_loadcnt 0x6
	v_lshrrev_b32_e32 v8, 16, v37
	v_mul_f16_e32 v13, v51, v37
	ds_store_2addr_b32 v3, v2, v7 offset0:65 offset1:78
	v_pack_b32_f16 v2, v4, v11
	v_fmac_f16_e32 v10, v6, v36
	v_mul_f16_e32 v4, v51, v8
	s_wait_loadcnt 0x5
	v_lshrrev_b32_e32 v6, 16, v38
	v_mul_f16_e32 v7, v52, v38
	v_fma_f16 v8, v9, v8, -v13
	v_pack_b32_f16 v5, v10, v5
	v_fmac_f16_e32 v4, v9, v37
	v_mul_f16_e32 v9, v52, v6
	v_fma_f16 v6, v20, v6, -v7
	s_wait_loadcnt 0x4
	v_lshrrev_b32_e32 v7, 16, v39
	v_mul_f16_e32 v10, v53, v39
	v_pack_b32_f16 v4, v4, v8
	v_fmac_f16_e32 v9, v20, v38
	s_wait_loadcnt 0x3
	v_lshrrev_b32_e32 v8, 16, v40
	v_mul_f16_e32 v11, v53, v7
	v_fma_f16 v7, v21, v7, -v10
	v_mul_f16_e32 v10, v54, v40
	v_pack_b32_f16 v6, v9, v6
	v_mul_f16_e32 v9, v54, v8
	s_wait_loadcnt 0x2
	v_lshrrev_b32_e32 v13, 16, v41
	s_wait_loadcnt 0x1
	v_lshrrev_b32_e32 v14, 16, v0
	v_fma_f16 v8, v22, v8, -v10
	v_mul_f16_e32 v10, v55, v41
	s_wait_loadcnt 0x0
	v_lshrrev_b32_e32 v17, 16, v1
	v_mul_f16_e32 v16, v55, v13
	v_mul_f16_e32 v18, v56, v14
	;; [unrolled: 1-line block ×3, first 2 shown]
	v_fma_f16 v10, v23, v13, -v10
	v_mul_f16_e32 v13, v56, v0
	v_mul_f16_e32 v20, v60, v17
	v_fmac_f16_e32 v11, v21, v39
	v_fmac_f16_e32 v9, v22, v40
	;; [unrolled: 1-line block ×3, first 2 shown]
	v_fma_f16 v13, v24, v14, -v13
	v_fmac_f16_e32 v18, v24, v0
	v_fma_f16 v0, v25, v17, -v19
	v_fmac_f16_e32 v20, v25, v1
	v_pack_b32_f16 v1, v11, v7
	v_pack_b32_f16 v7, v9, v8
	;; [unrolled: 1-line block ×6, first 2 shown]
	ds_store_2addr_b32 v3, v2, v5 offset0:91 offset1:104
	ds_store_2addr_b32 v3, v4, v6 offset0:117 offset1:130
	;; [unrolled: 1-line block ×5, first 2 shown]
.LBB0_3:
	s_or_b32 exec_lo, exec_lo, s3
	s_clause 0x1
	s_load_b64 s[2:3], s[0:1], 0x20
	s_load_b64 s[0:1], s[0:1], 0x8
	global_wb scope:SCOPE_SE
	s_wait_dscnt 0x0
	s_wait_kmcnt 0x0
	s_barrier_signal -1
	s_barrier_wait -1
	global_inv scope:SCOPE_SE
                                        ; implicit-def: $vgpr0
                                        ; implicit-def: $vgpr5
                                        ; implicit-def: $vgpr33
                                        ; implicit-def: $vgpr2
                                        ; implicit-def: $vgpr28
                                        ; implicit-def: $vgpr27
                                        ; implicit-def: $vgpr6
                                        ; implicit-def: $vgpr26
                                        ; implicit-def: $vgpr25
                                        ; implicit-def: $vgpr8
                                        ; implicit-def: $vgpr24
                                        ; implicit-def: $vgpr23
                                        ; implicit-def: $vgpr21
                                        ; implicit-def: $vgpr22
                                        ; implicit-def: $vgpr39
                                        ; implicit-def: $vgpr11
                                        ; implicit-def: $vgpr40
                                        ; implicit-def: $vgpr41
                                        ; implicit-def: $vgpr18
                                        ; implicit-def: $vgpr42
                                        ; implicit-def: $vgpr43
                                        ; implicit-def: $vgpr20
                                        ; implicit-def: $vgpr44
                                        ; implicit-def: $vgpr45
                                        ; implicit-def: $vgpr46
	s_and_saveexec_b32 s4, vcc_lo
	s_cbranch_execz .LBB0_5
; %bb.4:
	v_lshl_add_u32 v13, v15, 2, v30
	ds_load_2addr_b32 v[0:1], v13 offset1:13
	ds_load_2addr_b32 v[19:20], v13 offset0:26 offset1:39
	ds_load_2addr_b32 v[17:18], v13 offset0:52 offset1:65
	;; [unrolled: 1-line block ×7, first 2 shown]
	ds_load_b32 v21, v13 offset:832
	s_wait_dscnt 0x8
	v_lshrrev_b32_e32 v46, 16, v1
	s_wait_dscnt 0x7
	v_lshrrev_b32_e32 v45, 16, v19
	v_lshrrev_b32_e32 v44, 16, v20
	s_wait_dscnt 0x6
	v_lshrrev_b32_e32 v43, 16, v17
	;; [unrolled: 3-line block ×8, first 2 shown]
.LBB0_5:
	s_wait_alu 0xfffe
	s_or_b32 exec_lo, exec_lo, s4
	s_delay_alu instid0(VALU_DEP_1)
	v_sub_f16_e32 v99, v46, v22
	v_sub_f16_e32 v109, v1, v21
	v_add_f16_e32 v47, v21, v1
	v_sub_f16_e32 v105, v45, v23
	v_add_f16_e32 v49, v22, v46
	v_mul_f16_e32 v59, 0xb5c8, v99
	v_mul_f16_e32 v61, 0xb5c8, v109
	;; [unrolled: 1-line block ×4, first 2 shown]
	v_sub_f16_e32 v115, v19, v9
	v_fmamk_f16 v13, v47, 0x3b76, v59
	v_add_f16_e32 v50, v9, v19
	v_mul_f16_e32 v62, 0xb964, v105
	v_lshrrev_b32_e32 v48, 16, v0
	v_fma_f16 v14, v49, 0x3b76, -v61
	v_mul_f16_e32 v74, 0xbb29, v99
	v_mul_f16_e32 v78, 0xbb29, v109
	v_fmamk_f16 v16, v47, 0x39e9, v66
	v_add_f16_e32 v13, v13, v0
	v_fma_f16 v34, v49, 0x39e9, -v70
	v_add_f16_e32 v51, v23, v45
	v_mul_f16_e32 v65, 0xb964, v115
	v_fmamk_f16 v52, v50, 0x39e9, v62
	v_mul_f16_e32 v69, 0xbbf7, v105
	v_mul_f16_e32 v72, 0xbbf7, v115
	v_add_f16_e32 v14, v14, v48
	v_fmamk_f16 v35, v47, 0x3722, v74
	v_fma_f16 v36, v49, 0x3722, -v78
	v_add_f16_e32 v16, v16, v0
	v_add_f16_e32 v34, v34, v48
	v_fma_f16 v53, v51, 0x39e9, -v65
	v_mul_f16_e32 v77, 0xba62, v105
	v_add_f16_e32 v60, v52, v13
	v_fmamk_f16 v13, v50, 0x2de8, v69
	v_fma_f16 v52, v51, 0x2de8, -v72
	v_mul_f16_e32 v84, 0xba62, v115
	v_sub_f16_e32 v111, v44, v24
	v_add_f16_e32 v35, v35, v0
	v_add_f16_e32 v36, v36, v48
	;; [unrolled: 1-line block ×3, first 2 shown]
	v_fmamk_f16 v14, v50, 0xb8d2, v77
	v_add_f16_e32 v13, v13, v16
	v_add_f16_e32 v16, v52, v34
	v_fma_f16 v34, v51, 0xb8d2, -v84
	v_add_f16_e32 v52, v8, v20
	v_mul_f16_e32 v71, 0xba62, v111
	v_mul_f16_e32 v81, 0x31e1, v111
	v_sub_f16_e32 v112, v43, v25
	v_add_f16_e32 v14, v14, v35
	v_add_f16_e32 v34, v34, v36
	v_fmamk_f16 v36, v52, 0xb8d2, v71
	v_fmamk_f16 v54, v52, 0xbbdd, v81
	v_add_f16_e32 v53, v7, v17
	v_mul_f16_e32 v73, 0xb1e1, v112
	v_mul_f16_e32 v83, 0x3bb2, v112
	v_sub_f16_e32 v116, v42, v26
	v_add_f16_e32 v13, v36, v13
	v_add_f16_e32 v14, v54, v14
	v_fmamk_f16 v36, v53, 0xbbdd, v73
	v_fmamk_f16 v55, v53, 0xb461, v83
	v_add_f16_e32 v54, v6, v18
	v_mul_f16_e32 v75, 0x3836, v116
	v_mul_f16_e32 v87, 0x3964, v116
	v_sub_f16_e32 v119, v41, v27
	v_mul_f16_e32 v86, 0xbbf7, v99
	v_add_f16_e32 v13, v36, v13
	v_add_f16_e32 v14, v55, v14
	v_fmamk_f16 v36, v54, 0xbacd, v75
	v_fmamk_f16 v56, v54, 0x39e9, v87
	v_add_f16_e32 v55, v3, v10
	v_mul_f16_e32 v76, 0x3bb2, v119
	v_mul_f16_e32 v91, 0xb5c8, v119
	v_sub_f16_e32 v120, v40, v28
	v_fmamk_f16 v37, v47, 0x2de8, v86
	v_mul_f16_e32 v97, 0xb1e1, v105
	v_add_f16_e32 v13, v36, v13
	v_add_f16_e32 v14, v56, v14
	v_fmamk_f16 v36, v55, 0xb461, v76
	v_fmamk_f16 v57, v55, 0x3b76, v91
	v_add_f16_e32 v56, v2, v11
	v_mul_f16_e32 v79, 0x3b29, v120
	v_mul_f16_e32 v94, 0xbbf7, v120
	v_sub_f16_e32 v118, v39, v33
	v_add_f16_e32 v37, v37, v0
	v_fmamk_f16 v35, v50, 0xbbdd, v97
	v_add_f16_e32 v13, v36, v13
	v_add_f16_e32 v14, v57, v14
	v_fmamk_f16 v36, v56, 0x3722, v79
	v_add_f16_e32 v57, v5, v4
	v_mul_f16_e32 v80, 0x35c8, v118
	v_fmamk_f16 v58, v56, 0x2de8, v94
	v_mul_f16_e32 v98, 0xb836, v118
	v_mul_f16_e32 v102, 0xbbf7, v109
	v_add_f16_e32 v35, v35, v37
	v_add_f16_e32 v13, v36, v13
	v_fmamk_f16 v36, v57, 0x3b76, v80
	v_add_f16_e32 v37, v58, v14
	v_fmamk_f16 v58, v57, 0xbacd, v98
	v_sub_f16_e64 v133, v20, v8
	v_mul_f16_e32 v82, 0xbb29, v111
	v_fma_f16 v38, v49, 0x2de8, -v102
	v_mul_f16_e64 v189, 0xb1e1, v115
	v_add_f16_e32 v14, v36, v13
	v_add_f16_e32 v13, v58, v37
	;; [unrolled: 1-line block ×3, first 2 shown]
	v_fmamk_f16 v37, v52, 0x3722, v82
	v_mul_f16_e64 v108, 0xba62, v133
	v_add_f16_e32 v38, v38, v48
	v_fma_f16 v36, v51, 0xbbdd, -v189
	v_mul_f16_e64 v88, 0xbb29, v133
	v_add_f16_e32 v37, v37, v60
	v_fma_f16 v60, v58, 0xb8d2, -v108
	v_mul_f16_e64 v166, 0x3bb2, v111
	v_add_f16_e32 v36, v36, v38
	v_mul_f16_e64 v130, 0x31e1, v133
	v_fma_f16 v38, v58, 0x3722, -v88
	v_mul_f16_e64 v191, 0x3bb2, v133
	v_add_f16_e32 v16, v60, v16
	v_fma_f16 v60, 0xb461, v52, v166
	v_sub_f16_e64 v134, v17, v7
	v_fma_f16 v64, v58, 0xbbdd, -v130
	v_add_f16_e32 v38, v38, v63
	v_fma_f16 v63, v58, 0xb461, -v191
	v_mul_f16_e32 v85, 0xbbf7, v112
	v_add_f16_e32 v35, v60, v35
	v_add_f16_e32 v60, v25, v43
	v_mul_f16_e64 v90, 0xbbf7, v134
	v_add_f16_e32 v34, v64, v34
	v_add_f16_e32 v36, v63, v36
	v_fmamk_f16 v63, v53, 0x2de8, v85
	v_mul_f16_e64 v113, 0xb1e1, v134
	v_fma_f16 v64, v60, 0x2de8, -v90
	v_mul_f16_e64 v181, 0x35c8, v112
	v_mul_f16_e64 v139, 0x3bb2, v134
	v_add_f16_e32 v37, v63, v37
	v_fma_f16 v63, v60, 0xbbdd, -v113
	v_add_f16_e32 v38, v64, v38
	v_fma_f16 v64, 0x3b76, v53, v181
	v_mul_f16_e64 v194, 0x35c8, v134
	v_sub_f16_e64 v135, v18, v6
	v_fma_f16 v67, v60, 0xb461, -v139
	v_add_f16_e32 v16, v63, v16
	v_add_f16_e32 v35, v64, v35
	v_fma_f16 v64, v60, 0x3b76, -v194
	v_mul_f16_e32 v89, 0xbbb2, v116
	v_add_f16_e32 v63, v26, v42
	v_mul_f16_e64 v96, 0xbbb2, v135
	v_mul_f16_e64 v114, 0x3836, v135
	v_add_f16_e32 v34, v67, v34
	v_mul_f16_e64 v146, 0x3964, v135
	v_fmamk_f16 v67, v54, 0xb461, v89
	v_add_f16_e32 v36, v64, v36
	v_fma_f16 v64, v63, 0xb461, -v96
	v_fma_f16 v68, v63, 0xbacd, -v114
	v_mul_f16_e64 v187, 0xbb29, v116
	v_sub_f16_e64 v136, v10, v3
	v_mul_f16_e32 v95, 0xba62, v119
	v_fma_f16 v92, v63, 0x39e9, -v146
	v_add_f16_e32 v37, v67, v37
	v_add_f16_e32 v38, v64, v38
	v_add_f16_e32 v16, v68, v16
	v_fma_f16 v67, 0x3722, v54, v187
	v_mul_f16_e64 v195, 0xbb29, v135
	v_add_f16_e32 v64, v27, v41
	v_fmamk_f16 v68, v55, 0xb8d2, v95
	v_mul_f16_e64 v165, 0xb5c8, v136
	v_add_f16_e32 v34, v92, v34
	v_mul_f16_e64 v101, 0xba62, v136
	v_mul_f16_e64 v117, 0x3bb2, v136
	v_add_f16_e32 v35, v67, v35
	v_fma_f16 v67, v63, 0x3722, -v195
	v_add_f16_e32 v37, v68, v37
	v_fma_f16 v68, v64, 0x3b76, -v165
	v_sub_f16_e64 v159, v11, v2
	v_mul_f16_e64 v197, 0xb836, v136
	v_fma_f16 v92, v64, 0xb8d2, -v101
	v_fma_f16 v93, v64, 0xb461, -v117
	v_add_f16_e32 v36, v67, v36
	v_mul_f16_e64 v192, 0xb836, v119
	v_add_f16_e32 v67, v28, v40
	v_mul_f16_e64 v104, 0xb836, v159
	v_add_f16_e32 v34, v68, v34
	v_fma_f16 v68, v64, 0xbacd, -v197
	v_mul_f16_e64 v121, 0x3b29, v159
	v_add_f16_e32 v38, v92, v38
	v_add_f16_e32 v16, v93, v16
	v_mul_f16_e32 v100, 0xb836, v120
	v_fma_f16 v92, 0xbacd, v55, v192
	v_fma_f16 v103, v67, 0xbacd, -v104
	v_add_f16_e32 v36, v68, v36
	v_fma_f16 v68, v67, 0x3722, -v121
	v_mul_f16_e64 v190, 0x3a62, v120
	v_fmamk_f16 v93, v56, 0xbacd, v100
	v_add_f16_e32 v35, v92, v35
	v_add_f16_e32 v38, v103, v38
	v_mul_f16_e64 v170, 0xbbf7, v159
	v_mul_f16_e64 v196, 0x3a62, v159
	v_mul_f16_e32 v103, 0xb1e1, v118
	v_add_f16_e32 v16, v68, v16
	v_fma_f16 v68, 0xb8d2, v56, v190
	v_sub_f16_e64 v164, v4, v5
	v_add_f16_e32 v37, v93, v37
	v_fma_f16 v92, v67, 0x2de8, -v170
	v_fma_f16 v93, v67, 0xb8d2, -v196
	v_fmamk_f16 v106, v57, 0xbbdd, v103
	v_add_f16_e32 v107, v68, v35
	v_add_f16_e32 v68, v33, v39
	v_mul_f16_e64 v110, 0xb1e1, v164
	v_mul_f16_e64 v127, 0x35c8, v164
	;; [unrolled: 1-line block ×5, first 2 shown]
	v_add_f16_e32 v92, v92, v34
	v_add_f16_e32 v93, v93, v36
	;; [unrolled: 1-line block ×3, first 2 shown]
	v_fma_f16 v35, v68, 0xbbdd, -v110
	v_fma_f16 v36, v68, 0x3b76, -v127
	;; [unrolled: 1-line block ×4, first 2 shown]
	v_fma_f16 v122, 0x39e9, v57, v188
	v_add_f16_e32 v35, v35, v38
	v_add_f16_e32 v36, v36, v16
	;; [unrolled: 1-line block ×5, first 2 shown]
	global_wb scope:SCOPE_SE
	s_barrier_signal -1
	s_barrier_wait -1
	global_inv scope:SCOPE_SE
	s_and_saveexec_b32 s4, vcc_lo
	s_cbranch_execz .LBB0_7
; %bb.6:
	v_mul_f16_e64 v145, 0xb1e1, v109
	v_mul_f16_e64 v138, 0xb1e1, v99
	;; [unrolled: 1-line block ×5, first 2 shown]
	v_fma_f16 v92, 0xbbdd, v49, v145
	v_fma_f16 v93, v47, 0xbbdd, -v138
	v_fma_f16 v106, 0x3b76, v51, v143
	v_mul_f16_e64 v128, 0xb836, v111
	v_fma_f16 v107, v50, 0x3b76, -v137
	v_add_f16_e32 v92, v92, v48
	v_add_f16_e32 v93, v93, v0
	v_fma_f16 v122, 0xbacd, v58, v142
	v_mul_f16_e64 v129, 0x3964, v112
	v_mul_f16_e64 v161, 0xb836, v109
	v_add_f16_e32 v92, v106, v92
	v_fma_f16 v106, v52, 0xbacd, -v128
	v_add_f16_e32 v93, v107, v93
	v_mul_f16_e64 v152, 0x3964, v134
	v_mul_f16_e64 v162, 0x3b29, v115
	v_add_f16_e32 v92, v122, v92
	v_fma_f16 v122, v53, 0x39e9, -v129
	v_add_f16_e32 v93, v106, v93
	v_mul_f16_e64 v141, 0xba62, v135
	v_fma_f16 v107, 0x39e9, v60, v152
	v_fma_f16 v123, 0x3722, v51, v162
	v_mul_f16_e64 v163, 0xbbf7, v133
	v_add_f16_e32 v93, v122, v93
	v_fma_f16 v122, 0xbacd, v49, v161
	v_mul_f16_e32 v125, 0xba62, v116
	v_fma_f16 v106, 0xb8d2, v63, v141
	v_add_f16_e32 v92, v107, v92
	v_mul_f16_e64 v174, 0x3b29, v136
	v_add_f16_e32 v122, v122, v48
	v_mul_f16_e64 v156, 0x3a62, v134
	v_fma_f16 v107, v54, 0xb8d2, -v125
	v_mul_f16_e64 v140, 0x3b29, v119
	v_add_f16_e32 v92, v106, v92
	v_add_f16_e32 v122, v123, v122
	v_fma_f16 v123, 0x2de8, v58, v163
	v_fma_f16 v106, 0x3722, v64, v174
	v_mul_f16_e64 v169, 0xbbb2, v159
	v_mul_f16_e64 v157, 0xb5c8, v135
	v_add_f16_e32 v93, v107, v93
	v_add_f16_e32 v122, v123, v122
	v_fma_f16 v123, 0xb8d2, v60, v156
	v_fma_f16 v107, v55, 0x3722, -v140
	v_mul_f16_e64 v147, 0xbbb2, v120
	v_add_f16_e32 v92, v106, v92
	v_fma_f16 v106, 0xb461, v67, v169
	v_mul_f16_e64 v180, 0x3bf7, v164
	v_add_f16_e32 v122, v123, v122
	v_fma_f16 v123, 0x3b76, v63, v157
	v_mul_f16_e64 v158, 0xb1e1, v136
	v_add_f16_e32 v93, v107, v93
	v_fma_f16 v107, v56, 0xb461, -v147
	v_mul_f16_e64 v154, 0x3bf7, v118
	v_add_f16_e32 v92, v106, v92
	v_fma_f16 v106, 0x2de8, v68, v180
	v_add_f16_e32 v122, v123, v122
	v_fma_f16 v123, 0xbbdd, v64, v158
	v_mul_f16_e64 v144, 0x3964, v159
	v_mul_f16_e64 v177, 0xb836, v99
	v_add_f16_e32 v93, v107, v93
	v_fma_f16 v107, v57, 0x2de8, -v154
	v_add_f16_e32 v122, v123, v122
	v_fma_f16 v123, 0x39e9, v67, v144
	v_add_f16_e32 v92, v106, v92
	v_fma_f16 v106, v47, 0xbacd, -v177
	v_mul_f16_e64 v178, 0x3b29, v105
	v_mul_f16_e64 v175, 0xba62, v109
	v_add_f16_e32 v93, v107, v93
	v_add_f16_e32 v107, v123, v122
	v_add_f16_e32 v106, v106, v0
	v_fma_f16 v122, v50, 0x3722, -v178
	v_mul_f16_e64 v186, 0xbbf7, v111
	v_fma_f16 v123, 0xb8d2, v49, v175
	v_mul_f16_e64 v176, 0x3bb2, v115
	v_mul_f16_e64 v182, 0x3a62, v112
	v_add_f16_e32 v106, v122, v106
	v_fma_f16 v122, v52, 0x2de8, -v186
	v_add_f16_e32 v123, v123, v48
	v_fma_f16 v124, 0xb461, v51, v176
	v_mul_f16_e64 v179, 0xb5c8, v133
	v_mul_f16_e64 v183, 0xb5c8, v116
	v_add_f16_e32 v106, v122, v106
	v_fma_f16 v122, v53, 0xb8d2, -v182
	v_add_f16_e32 v123, v124, v123
	;; [unrolled: 6-line block ×4, first 2 shown]
	v_fma_f16 v131, 0x2de8, v63, v168
	v_mul_f16_e64 v123, 0xb964, v136
	v_mul_f16_e64 v155, 0xbbb2, v164
	v_add_f16_e32 v106, v122, v106
	v_fma_f16 v132, v56, 0x39e9, -v173
	v_mul_f16_e32 v122, 0xbbb2, v118
	v_add_f16_e64 v131, v131, v124
	v_fma_f16 v148, 0x39e9, v64, v123
	v_mul_f16_e64 v124, 0xb1e1, v159
	v_fma_f16 v126, 0xb461, v68, v155
	v_add_f16_e64 v132, v132, v106
	v_fma_f16 v149, v57, 0xb461, -v122
	v_mul_f16_e64 v184, 0xba62, v99
	v_add_f16_e64 v131, v148, v131
	v_fma_f16 v148, 0xbbdd, v67, v124
	v_add_f16_e32 v106, v126, v107
	v_add_f16_e64 v107, v149, v132
	v_fma_f16 v132, v47, 0xb8d2, -v184
	v_mul_f16_e64 v185, 0x3bb2, v105
	v_add_f16_e64 v160, v148, v131
	v_mul_f16_e64 v131, 0xbbb2, v109
	v_mul_f16_e64 v148, 0xb5c8, v111
	v_add_f16_e64 v109, v132, v0
	v_fma_f16 v149, v50, 0xb461, -v185
	v_mul_f16_e64 v132, 0x3836, v115
	v_fma_f16 v150, 0xb461, v49, v131
	v_fma_f16 v151, v52, 0x3b76, -v148
	v_mul_f16_e64 v115, 0x3964, v133
	v_add_f16_e64 v109, v149, v109
	v_mul_f16_e64 v149, 0xb836, v112
	v_add_f16_e64 v150, v150, v48
	v_fma_f16 v153, 0xbacd, v51, v132
	v_fma_f16 v200, 0x39e9, v58, v115
	v_add_f16_e64 v109, v151, v109
	v_fma_f16 v199, v53, 0xbacd, -v149
	v_mul_f16_e64 v151, 0x3bf7, v116
	v_add_f16_e64 v150, v153, v150
	v_mul_f16_e64 v133, 0xbb29, v134
	v_mul_f16_e64 v135, 0xb1e1, v135
	v_add_f16_e64 v109, v199, v109
	v_fma_f16 v134, v54, 0x2de8, -v151
	v_add_f16_e64 v199, v200, v150
	v_fma_f16 v200, 0x3722, v60, v133
	v_mul_f16_e64 v153, 0xb964, v119
	v_mul_f16_e64 v126, 0x3b29, v164
	v_add_f16_e64 v109, v134, v109
	v_mul_f16_e64 v134, 0x3bf7, v136
	v_add_f16_e64 v199, v200, v199
	v_fma_f16 v200, 0xbbdd, v63, v135
	v_fma_f16 v201, v55, 0x39e9, -v153
	v_mul_f16_e64 v150, 0xb1e1, v120
	v_mul_f16_e64 v136, 0xb5c8, v159
	v_fma_f16 v198, 0x3722, v68, v126
	v_add_f16_e64 v199, v200, v199
	v_fma_f16 v200, 0x2de8, v64, v134
	v_add_f16_e64 v201, v201, v109
	v_fma_f16 v202, v56, 0xbbdd, -v150
	v_mul_f16_e32 v109, 0x3b29, v118
	v_mul_f16_e64 v159, 0xbbb2, v99
	v_add_f16_e64 v199, v200, v199
	v_fma_f16 v200, 0x3b76, v67, v136
	v_add_f16_e64 v201, v202, v201
	v_fma_f16 v202, v57, 0x3722, -v109
	v_add_f16_e64 v99, v198, v160
	v_fma_f16 v198, v47, 0xb461, -v159
	v_mul_f16_e64 v160, 0x3836, v105
	v_add_f16_e64 v199, v200, v199
	v_mul_f16_e64 v200, 0x2de8, v49
	v_add_f16_e64 v105, v202, v201
	v_add_f16_e64 v198, v198, v0
	v_fma_f16 v201, v50, 0xbacd, -v160
	v_mul_f16_e32 v111, 0x3964, v111
	v_mul_f16_e64 v202, 0xbbdd, v51
	v_add_f16_e64 v102, v102, v200
	v_mul_f16_e64 v164, 0xba62, v164
	v_add_f16_e64 v198, v201, v198
	v_fma_f16 v200, v52, 0x39e9, -v111
	v_add_f16_e64 v189, v189, v202
	v_add_f16_e32 v102, v102, v48
	v_mul_f16_e32 v112, 0xbb29, v112
	v_fma_f16 v201, 0xb8d2, v68, v164
	v_mul_f16_e64 v202, 0xb461, v58
	v_add_f16_e64 v198, v200, v198
	v_add_f16_e64 v189, v189, v102
	v_fma_f16 v200, v53, 0x3722, -v112
	v_mul_f16_e32 v116, 0xb1e1, v116
	v_add_f16_e64 v191, v191, v202
	v_add_f16_e64 v102, v201, v199
	v_mul_f16_e64 v199, 0x3b76, v60
	v_add_f16_e64 v198, v200, v198
	v_fma_f16 v200, v54, 0xbbdd, -v116
	v_add_f16_e64 v189, v191, v189
	v_mul_f16_e32 v119, 0x3bf7, v119
	v_add_f16_e64 v191, v194, v199
	v_mul_f16_e64 v194, 0x2de8, v47
	v_add_f16_e64 v198, v200, v198
	v_mul_f16_e64 v199, 0x3722, v63
	v_fma_f16 v200, v55, 0x2de8, -v119
	v_mul_f16_e64 v201, 0xbbdd, v50
	v_sub_f16_e64 v86, v194, v86
	v_add_f16_e64 v189, v191, v189
	v_add_f16_e64 v191, v195, v199
	;; [unrolled: 1-line block ×3, first 2 shown]
	v_sub_f16_e64 v97, v201, v97
	v_add_f16_e64 v195, v86, v0
	v_mul_f16_e64 v198, 0xb461, v52
	v_mul_f16_e32 v86, 0xb5c8, v120
	v_mul_f16_e32 v120, 0xbacd, v64
	v_add_f16_e64 v189, v191, v189
	v_add_f16_e64 v97, v97, v195
	v_sub_f16_e64 v166, v198, v166
	v_mul_f16_e64 v191, 0x3b76, v53
	v_add_f16_e64 v120, v197, v120
	v_mul_f16_e64 v197, 0x3722, v49
	v_fmac_f16_e64 v138, 0xbbdd, v47
	v_add_f16_e64 v97, v166, v97
	v_sub_f16_e64 v166, v191, v181
	v_mul_f16_e64 v191, 0xb8d2, v51
	v_add_f16_e64 v78, v78, v197
	v_add_f16_e64 v120, v120, v189
	v_mul_f16_e64 v189, 0x3722, v54
	v_add_f16_e64 v97, v166, v97
	v_add_f16_e64 v84, v84, v191
	v_add_f16_e32 v78, v78, v48
	v_mul_f16_e64 v191, 0x3722, v47
	v_sub_f16_e64 v166, v189, v187
	v_mul_f16_e64 v187, 0xbbdd, v58
	v_fmac_f16_e64 v137, 0x3b76, v50
	v_add_f16_e32 v84, v84, v78
	v_mul_f16_e32 v78, 0xba62, v118
	v_add_f16_e64 v97, v166, v97
	v_add_f16_e64 v130, v130, v187
	v_mul_f16_e64 v166, 0xb461, v60
	v_mul_f16_e32 v118, 0xbacd, v55
	v_sub_f16_e64 v74, v191, v74
	v_fmac_f16_e64 v128, 0xbacd, v52
	v_add_f16_e64 v130, v130, v84
	v_add_f16_e64 v139, v139, v166
	v_mul_f16_e64 v166, 0xb8d2, v50
	v_sub_f16_e64 v118, v118, v192
	v_add_f16_e32 v74, v74, v0
	v_fmac_f16_e64 v129, 0x39e9, v53
	v_add_f16_e64 v130, v139, v130
	v_sub_f16_e64 v77, v166, v77
	v_mul_f16_e64 v139, 0xbbdd, v52
	v_add_f16_e32 v97, v118, v97
	v_mul_f16_e32 v118, 0x39e9, v63
	v_fmac_f16_e32 v125, 0xb8d2, v54
	v_add_f16_e32 v74, v77, v74
	v_sub_f16_e64 v81, v139, v81
	v_mul_f16_e64 v139, 0xb461, v53
	v_add_f16_e64 v118, v146, v118
	v_mul_f16_e32 v77, 0x3b76, v64
	v_fmac_f16_e64 v177, 0xbacd, v47
	v_add_f16_e32 v74, v81, v74
	v_sub_f16_e64 v81, v139, v83
	v_add_f16_e64 v118, v118, v130
	v_add_f16_e64 v77, v165, v77
	v_mul_f16_e64 v130, 0x39e9, v54
	v_mul_f16_e64 v139, 0x2de8, v67
	v_add_f16_e32 v74, v81, v74
	v_mul_f16_e32 v81, 0x39e9, v49
	v_add_f16_e32 v77, v77, v118
	v_sub_f16_e64 v87, v130, v87
	v_add_f16_e64 v118, v170, v139
	v_mul_f16_e64 v130, 0x3b76, v55
	v_mul_f16_e64 v139, 0x2de8, v51
	v_add_f16_e32 v70, v70, v81
	v_add_f16_e32 v74, v87, v74
	;; [unrolled: 1-line block ×3, first 2 shown]
	v_sub_f16_e64 v87, v130, v91
	v_add_f16_e64 v72, v72, v139
	v_add_f16_e32 v70, v70, v48
	v_mul_f16_e32 v91, 0xb8d2, v58
	v_mul_f16_e32 v118, 0x2de8, v56
	v_add_f16_e32 v74, v87, v74
	v_mul_f16_e32 v87, 0xbbdd, v60
	v_add_f16_e32 v70, v72, v70
	v_add_f16_e32 v91, v108, v91
	v_sub_f16_e32 v94, v118, v94
	v_mul_f16_e32 v72, 0xbacd, v68
	v_add_f16_e32 v87, v113, v87
	v_mul_f16_e32 v108, 0xbacd, v63
	v_add_f16_e32 v70, v91, v70
	v_add_f16_e32 v74, v94, v74
	v_mul_f16_e32 v94, 0x39e9, v47
	v_add_f16_e64 v72, v171, v72
	v_fmac_f16_e64 v178, 0x3722, v50
	v_add_f16_e32 v70, v87, v70
	v_mul_f16_e32 v87, 0x2de8, v50
	v_sub_f16_e32 v66, v94, v66
	v_add_f16_e32 v94, v114, v108
	v_add_f16_e32 v72, v72, v77
	v_mul_f16_e32 v77, 0xb461, v64
	v_sub_f16_e32 v69, v87, v69
	v_add_f16_e32 v66, v66, v0
	v_mul_f16_e32 v87, 0xb8d2, v52
	v_add_f16_e32 v70, v94, v70
	v_add_f16_e32 v77, v117, v77
	v_fmac_f16_e64 v186, 0x2de8, v52
	v_add_f16_e32 v66, v69, v66
	v_sub_f16_e32 v69, v87, v71
	v_mul_f16_e32 v71, 0xbbdd, v53
	v_mul_f16_e32 v87, 0x3722, v67
	v_add_f16_e32 v70, v77, v70
	v_mul_f16_e32 v77, 0x3b76, v47
	v_add_f16_e32 v66, v69, v66
	v_sub_f16_e32 v69, v71, v73
	v_mul_f16_e32 v71, 0xbacd, v54
	v_add_f16_e32 v73, v121, v87
	v_mul_f16_e32 v87, 0xb461, v55
	v_sub_f16_e32 v59, v77, v59
	v_add_f16_e32 v66, v69, v66
	v_sub_f16_e32 v71, v71, v75
	v_mul_f16_e32 v75, 0x3b76, v49
	v_add_f16_e32 v70, v73, v70
	v_mul_f16_e32 v73, 0x39e9, v50
	v_sub_f16_e32 v76, v87, v76
	v_add_f16_e32 v66, v71, v66
	v_mul_f16_e32 v71, 0x39e9, v51
	v_add_f16_e32 v61, v61, v75
	v_mul_f16_e32 v75, 0x3722, v52
	v_sub_f16_e32 v62, v73, v62
	v_add_f16_e32 v59, v59, v0
	v_mul_f16_e32 v69, 0x3b76, v68
	v_add_f16_e32 v65, v65, v71
	v_add_f16_e32 v61, v61, v48
	;; [unrolled: 1-line block ×3, first 2 shown]
	v_mul_f16_e32 v76, 0x2de8, v53
	v_add_f16_e32 v59, v62, v59
	v_sub_f16_e32 v62, v75, v82
	v_add_f16_e32 v69, v127, v69
	v_mul_f16_e32 v71, 0x3722, v58
	v_add_f16_e32 v61, v65, v61
	v_mul_f16_e32 v65, 0xb461, v54
	v_fma_f16 v75, v49, 0xbbdd, -v145
	v_add_f16_e32 v59, v62, v59
	v_sub_f16_e32 v62, v76, v85
	v_add_f16_e32 v71, v88, v71
	v_add_f16_e32 v69, v69, v70
	v_mul_f16_e32 v70, 0xb8d2, v55
	v_add_f16_e32 v75, v75, v48
	v_fma_f16 v76, v51, 0x3b76, -v143
	v_add_f16_e32 v59, v62, v59
	v_sub_f16_e32 v62, v65, v89
	v_add_f16_e32 v61, v71, v61
	v_mul_f16_e32 v71, 0xbacd, v56
	v_add_f16_e32 v65, v76, v75
	v_fma_f16 v75, v58, 0xbacd, -v142
	v_add_f16_e32 v59, v62, v59
	v_sub_f16_e32 v62, v70, v95
	v_mul_f16_e32 v73, 0xbbdd, v57
	v_fma_f16 v70, v60, 0x39e9, -v152
	v_add_f16_e32 v65, v75, v65
	v_mul_f16_e32 v87, 0x3722, v56
	v_add_f16_e32 v59, v62, v59
	v_sub_f16_e32 v62, v71, v100
	v_add_f16_e64 v71, v138, v0
	v_add_f16_e32 v65, v70, v65
	v_fma_f16 v70, v63, 0xb8d2, -v141
	v_sub_f16_e32 v79, v87, v79
	v_add_f16_e32 v59, v62, v59
	v_sub_f16_e32 v62, v73, v103
	v_mul_f16_e32 v87, 0x2de8, v60
	v_add_f16_e32 v65, v70, v65
	v_fma_f16 v70, v64, 0x3722, -v174
	v_add_f16_e64 v71, v137, v71
	v_add_f16_e32 v59, v62, v59
	v_fma_f16 v62, v49, 0xbacd, -v161
	v_mul_f16_e32 v88, 0xb461, v63
	v_mul_f16_e32 v77, 0x3b76, v57
	v_add_f16_e32 v87, v90, v87
	v_add_f16_e32 v65, v70, v65
	v_fma_f16 v70, v67, 0xb461, -v169
	v_add_f16_e64 v71, v128, v71
	v_add_f16_e32 v62, v62, v48
	v_fma_f16 v73, v51, 0x3722, -v162
	v_add_f16_e32 v66, v79, v66
	v_mul_f16_e32 v79, 0xb8d2, v64
	v_sub_f16_e32 v77, v77, v80
	v_add_f16_e32 v61, v87, v61
	v_add_f16_e32 v87, v96, v88
	;; [unrolled: 1-line block ×3, first 2 shown]
	v_fma_f16 v70, v68, 0x2de8, -v180
	v_add_f16_e64 v71, v129, v71
	v_add_f16_e32 v62, v73, v62
	v_fma_f16 v73, v58, 0x2de8, -v163
	v_mul_f16_e32 v90, 0xbacd, v67
	v_add_f16_e32 v66, v77, v66
	v_add_f16_e32 v61, v87, v61
	v_add_f16_e32 v77, v101, v79
	v_add_f16_e32 v65, v70, v65
	v_add_f16_e32 v70, v125, v71
	v_add_f16_e32 v62, v73, v62
	v_fma_f16 v71, v60, 0xb8d2, -v156
	v_add_f16_e64 v73, v177, v0
	v_mul_f16_e32 v80, 0xbbdd, v68
	v_add_f16_e32 v61, v77, v61
	v_add_f16_e32 v77, v104, v90
	;; [unrolled: 1-line block ×3, first 2 shown]
	v_fma_f16 v71, v63, 0x3b76, -v157
	v_add_f16_e64 v73, v178, v73
	v_add_f16_e32 v76, v110, v80
	v_add_f16_e32 v61, v77, v61
	v_fmac_f16_e64 v182, 0xb8d2, v53
	v_add_f16_e32 v62, v71, v62
	v_fma_f16 v71, v64, 0xbbdd, -v158
	v_add_f16_e64 v73, v186, v73
	v_fma_f16 v75, v49, 0xb8d2, -v175
	v_add_f16_e32 v61, v76, v61
	v_fmac_f16_e64 v183, 0x3b76, v54
	v_add_f16_e32 v62, v71, v62
	v_fma_f16 v71, v67, 0x39e9, -v144
	v_add_f16_e64 v73, v182, v73
	v_add_f16_e32 v75, v75, v48
	v_fma_f16 v76, v51, 0xb461, -v176
	v_fmac_f16_e64 v172, 0xbbdd, v55
	v_add_f16_e32 v62, v71, v62
	v_fma_f16 v71, v68, 0xb461, -v155
	v_add_f16_e64 v73, v183, v73
	v_add_f16_e32 v75, v76, v75
	v_fma_f16 v76, v58, 0x3b76, -v179
	v_fmac_f16_e64 v184, 0xb8d2, v47
	v_add_f16_e32 v62, v71, v62
	v_add_f16_e64 v71, v172, v73
	v_fmac_f16_e64 v185, 0xb461, v50
	v_add_f16_e32 v73, v76, v75
	v_fma_f16 v75, v60, 0xbacd, -v167
	v_add_f16_e64 v76, v184, v0
	v_add_f16_e32 v46, v46, v48
	v_add_f16_e32 v1, v1, v0
	v_fmac_f16_e64 v148, 0x3b76, v52
	v_add_f16_e32 v73, v75, v73
	v_fma_f16 v75, v63, 0x2de8, -v168
	v_add_f16_e64 v76, v185, v76
	v_add_f16_e32 v45, v45, v46
	v_add_f16_e32 v1, v19, v1
	;; [unrolled: 6-line block ×3, first 2 shown]
	v_fma_f16 v46, v67, 0xbbdd, -v124
	v_add_f16_e32 v19, v75, v73
	v_add_f16_e64 v20, v149, v76
	v_fmac_f16_e64 v151, 0x2de8, v54
	v_add_f16_e32 v43, v43, v44
	v_add_f16_e32 v1, v17, v1
	;; [unrolled: 1-line block ×3, first 2 shown]
	v_fmac_f16_e64 v159, 0xb461, v47
	v_add_f16_e64 v19, v151, v20
	v_add_f16_e32 v20, v42, v43
	v_add_f16_e32 v1, v18, v1
	v_fma_f16 v18, v68, 0x3722, -v126
	v_fma_f16 v42, v49, 0xb461, -v131
	v_add_f16_e64 v0, v159, v0
	v_add_f16_e32 v20, v41, v20
	v_add_f16_e32 v1, v10, v1
	v_fma_f16 v41, v51, 0xbacd, -v132
	v_add_f16_e32 v10, v42, v48
	v_fmac_f16_e64 v160, 0xbacd, v50
	v_add_f16_e32 v20, v40, v20
	v_add_f16_e32 v1, v11, v1
	;; [unrolled: 1-line block ×4, first 2 shown]
	v_fma_f16 v195, v56, 0x3b76, -v86
	v_add_f16_e32 v18, v39, v20
	v_add_f16_e32 v1, v4, v1
	v_fma_f16 v4, v58, 0x39e9, -v115
	v_add_f16_e64 v0, v160, v0
	v_fmac_f16_e32 v111, 0x39e9, v52
	v_add_f16_e32 v18, v33, v18
	v_add_f16_e32 v1, v5, v1
	;; [unrolled: 1-line block ×3, first 2 shown]
	v_fma_f16 v5, v60, 0x3722, -v133
	v_add_f16_e64 v181, v195, v194
	v_add_f16_e32 v10, v28, v18
	v_add_f16_e32 v1, v2, v1
	v_fma_f16 v187, v57, 0xb8d2, -v78
	v_add_f16_e32 v2, v5, v4
	v_add_f16_e32 v0, v111, v0
	;; [unrolled: 1-line block ×4, first 2 shown]
	v_fmac_f16_e32 v112, 0x3722, v53
	v_fma_f16 v4, v63, 0xbbdd, -v135
	v_mul_f16_e64 v194, 0xb8d2, v67
	v_add_f16_e32 v3, v26, v5
	v_add_f16_e32 v1, v6, v1
	v_add_f16_e64 v84, v187, v181
	v_mul_f16_e64 v181, 0xb8d2, v56
	v_add_f16_e32 v0, v112, v0
	v_add_f16_e32 v3, v25, v3
	;; [unrolled: 1-line block ×3, first 2 shown]
	v_fmac_f16_e32 v116, 0xbbdd, v54
	v_fmac_f16_e64 v140, 0x3722, v55
	v_add_f16_e32 v2, v4, v2
	v_add_f16_e32 v3, v24, v3
	;; [unrolled: 1-line block ×3, first 2 shown]
	v_fma_f16 v4, v64, 0x2de8, -v134
	v_add_f16_e64 v189, v196, v194
	v_sub_f16_e64 v146, v181, v190
	v_add_f16_e32 v3, v23, v3
	v_add_f16_e32 v1, v9, v1
	v_mul_f16_e64 v166, 0x39e9, v68
	v_mul_f16_e32 v81, 0x39e9, v57
	v_mul_f16_e32 v91, 0xbacd, v57
	v_fmac_f16_e64 v153, 0x39e9, v55
	v_add_f16_e32 v0, v116, v0
	v_fmac_f16_e32 v119, 0x2de8, v55
	v_add_f16_e32 v3, v22, v3
	v_add_f16_e32 v1, v21, v1
	v_mul_lo_u16 v6, v31, 17
	v_add_f16_e64 v70, v140, v70
	v_fmac_f16_e64 v147, 0xb461, v56
	v_fmac_f16_e64 v173, 0x39e9, v56
	v_add_f16_e32 v2, v4, v2
	v_fma_f16 v4, v67, 0x3b76, -v136
	v_add_f16_e64 v120, v189, v120
	v_add_f16_e64 v83, v193, v166
	;; [unrolled: 1-line block ×3, first 2 shown]
	v_sub_f16_e64 v81, v81, v188
	v_sub_f16_e32 v91, v91, v98
	v_add_f16_e64 v19, v153, v19
	v_fmac_f16_e64 v150, 0xbbdd, v56
	v_add_f16_e32 v0, v119, v0
	v_fmac_f16_e32 v86, 0x3b76, v56
	v_lshlrev_b32_e32 v3, 16, v3
	v_and_b32_e32 v1, 0xffff, v1
	v_and_b32_e32 v6, 0xffff, v6
	v_add_f16_e64 v70, v147, v70
	v_fmac_f16_e64 v154, 0x2de8, v57
	v_add_f16_e64 v71, v173, v71
	v_fmac_f16_e32 v122, 0xb461, v57
	v_add_f16_e32 v2, v4, v2
	v_fma_f16 v4, v68, 0xb8d2, -v164
	v_add_f16_e32 v83, v83, v120
	v_add_f16_e32 v81, v81, v97
	v_add_f16_e32 v74, v91, v74
	v_add_f16_e64 v17, v150, v19
	v_fmac_f16_e32 v109, 0x3722, v57
	v_add_f16_e32 v0, v86, v0
	v_fmac_f16_e32 v78, 0xb8d2, v57
	v_or_b32_e32 v1, v3, v1
	v_add_lshl_u32 v3, v15, v6, 2
	v_add_f16_e64 v70, v154, v70
	v_add_f16_e32 v45, v122, v71
	v_add_f16_e32 v2, v4, v2
	v_pack_b32_f16 v4, v66, v69
	v_pack_b32_f16 v6, v59, v61
	v_add_f16_e32 v5, v109, v17
	v_pack_b32_f16 v7, v81, v83
	v_pack_b32_f16 v8, v74, v72
	;; [unrolled: 3-line block ×3, first 2 shown]
	ds_store_b32 v3, v1
	ds_store_2addr_b32 v3, v6, v4 offset0:1 offset1:2
	ds_store_2addr_b32 v3, v8, v7 offset0:3 offset1:4
	;; [unrolled: 1-line block ×3, first 2 shown]
	v_pack_b32_f16 v1, v93, v92
	v_pack_b32_f16 v4, v107, v106
	;; [unrolled: 1-line block ×6, first 2 shown]
	v_perm_b32 v5, v37, v13, 0x5040100
	v_perm_b32 v8, v38, v16, 0x5040100
	;; [unrolled: 1-line block ×4, first 2 shown]
	ds_store_2addr_b32 v3, v4, v1 offset0:7 offset1:8
	ds_store_2addr_b32 v3, v7, v6 offset0:9 offset1:10
	;; [unrolled: 1-line block ×5, first 2 shown]
.LBB0_7:
	s_wait_alu 0xfffe
	s_or_b32 exec_lo, exec_lo, s4
	v_mul_u32_u24_e32 v0, 12, v31
	s_load_b128 s[4:7], s[2:3], 0x0
	global_wb scope:SCOPE_SE
	s_wait_dscnt 0x0
	s_wait_kmcnt 0x0
	s_barrier_signal -1
	s_barrier_wait -1
	v_lshlrev_b32_e32 v0, 2, v0
	global_inv scope:SCOPE_SE
	v_add_lshl_u32 v47, v15, v31, 2
	s_clause 0x2
	global_load_b128 v[8:11], v0, s[0:1]
	global_load_b128 v[4:7], v0, s[0:1] offset:16
	global_load_b128 v[0:3], v0, s[0:1] offset:32
	ds_load_2addr_b32 v[17:18], v47 offset1:17
	ds_load_2addr_b32 v[26:27], v47 offset0:34 offset1:51
	ds_load_2addr_b32 v[57:58], v47 offset0:68 offset1:85
	;; [unrolled: 1-line block ×5, first 2 shown]
	ds_load_b32 v65, v47 offset:816
	s_wait_dscnt 0x6
	v_lshrrev_b32_e32 v20, 16, v18
	s_wait_dscnt 0x5
	v_lshrrev_b32_e32 v28, 16, v26
	;; [unrolled: 2-line block ×4, first 2 shown]
	v_lshrrev_b32_e32 v33, 16, v27
	v_lshrrev_b32_e32 v53, 16, v17
	;; [unrolled: 1-line block ×3, first 2 shown]
	s_wait_dscnt 0x2
	v_lshrrev_b32_e32 v70, 16, v62
	s_wait_dscnt 0x0
	v_lshrrev_b32_e32 v73, 16, v65
	v_lshrrev_b32_e32 v69, 16, v61
	;; [unrolled: 1-line block ×5, first 2 shown]
	s_wait_loadcnt 0x2
	v_lshrrev_b32_e32 v50, 16, v8
	v_lshrrev_b32_e32 v51, 16, v9
	s_wait_loadcnt 0x1
	v_lshrrev_b32_e32 v46, 16, v4
	v_lshrrev_b32_e32 v45, 16, v5
	;; [unrolled: 1-line block ×3, first 2 shown]
	v_mul_f16_e32 v56, v20, v50
	v_mul_f16_e32 v74, v18, v50
	;; [unrolled: 1-line block ×6, first 2 shown]
	v_fma_f16 v88, v18, v8, -v56
	v_fmac_f16_e32 v74, v20, v8
	v_lshrrev_b32_e32 v48, 16, v11
	s_wait_loadcnt 0x0
	v_lshrrev_b32_e32 v42, 16, v0
	v_lshrrev_b32_e32 v39, 16, v3
	v_mul_f16_e32 v77, v33, v49
	v_mul_f16_e32 v78, v27, v49
	v_mul_f16_e32 v54, v58, v46
	v_mul_f16_e32 v15, v59, v45
	v_fma_f16 v75, v26, v9, -v75
	v_fmac_f16_e32 v76, v28, v9
	v_fma_f16 v56, v58, v4, -v80
	v_fma_f16 v18, v59, v5, -v81
	v_add_f16_e32 v58, v88, v17
	v_add_f16_e32 v59, v74, v53
	v_lshrrev_b32_e32 v43, 16, v7
	v_lshrrev_b32_e32 v41, 16, v1
	;; [unrolled: 1-line block ×3, first 2 shown]
	v_mul_f16_e32 v79, v52, v48
	v_mul_f16_e32 v55, v57, v48
	;; [unrolled: 1-line block ×6, first 2 shown]
	v_fma_f16 v77, v27, v10, -v77
	v_fmac_f16_e32 v78, v33, v10
	v_add_f16_e32 v58, v58, v75
	v_add_f16_e32 v59, v59, v76
	v_lshrrev_b32_e32 v44, 16, v6
	v_mul_f16_e32 v83, v69, v43
	v_mul_f16_e32 v25, v61, v43
	;; [unrolled: 1-line block ×5, first 2 shown]
	v_fma_f16 v57, v57, v11, -v79
	v_fmac_f16_e32 v55, v52, v11
	v_fma_f16 v33, v62, v0, -v84
	v_fmac_f16_e32 v24, v70, v0
	;; [unrolled: 2-line block ×3, first 2 shown]
	v_add_f16_e32 v58, v58, v77
	v_add_f16_e32 v59, v59, v78
	v_mul_f16_e32 v82, v68, v44
	v_mul_f16_e32 v23, v63, v41
	v_fmac_f16_e32 v54, v66, v4
	v_fma_f16 v52, v61, v7, -v83
	v_fmac_f16_e32 v25, v69, v7
	v_fma_f16 v28, v63, v1, -v85
	v_fma_f16 v27, v64, v2, -v86
	v_fmac_f16_e32 v22, v72, v2
	v_add_f16_e32 v61, v74, v21
	v_sub_f16_e32 v62, v88, v26
	v_sub_f16_e32 v63, v74, v21
	v_add_f16_e32 v72, v57, v33
	v_add_f16_e32 v73, v55, v24
	v_sub_f16_e32 v74, v57, v33
	v_sub_f16_e32 v79, v55, v24
	v_add_f16_e32 v57, v58, v57
	v_add_f16_e32 v55, v59, v55
	v_mul_f16_e32 v19, v60, v44
	v_fmac_f16_e32 v15, v67, v5
	v_fma_f16 v20, v60, v6, -v82
	v_fmac_f16_e32 v23, v71, v1
	v_add_f16_e32 v60, v88, v26
	v_add_f16_e32 v64, v75, v27
	;; [unrolled: 1-line block ×3, first 2 shown]
	v_sub_f16_e32 v66, v75, v27
	v_sub_f16_e32 v67, v76, v22
	v_add_f16_e32 v80, v56, v52
	v_add_f16_e32 v81, v54, v25
	v_sub_f16_e32 v82, v56, v52
	v_sub_f16_e32 v83, v54, v25
	v_mul_f16_e32 v75, 0xb770, v63
	v_mul_f16_e32 v76, 0xb770, v62
	;; [unrolled: 1-line block ×7, first 2 shown]
	v_add_f16_e32 v56, v57, v56
	v_add_f16_e32 v54, v55, v54
	v_fmac_f16_e32 v19, v68, v6
	v_add_f16_e32 v68, v77, v28
	v_add_f16_e32 v69, v78, v23
	v_sub_f16_e32 v70, v77, v28
	v_sub_f16_e32 v71, v78, v23
	v_mul_f16_e32 v85, 0xba95, v62
	v_mul_f16_e32 v87, 0xbbf1, v62
	;; [unrolled: 1-line block ×12, first 2 shown]
	v_fma_f16 v77, v60, 0x3b15, -v75
	v_fmamk_f16 v78, v61, 0x3b15, v76
	v_fmac_f16_e32 v75, 0x3b15, v60
	v_fma_f16 v130, v60, 0x388b, -v84
	v_fmac_f16_e32 v84, 0x388b, v60
	v_fma_f16 v132, v60, 0x2fb7, -v86
	;; [unrolled: 2-line block ×5, first 2 shown]
	v_fmac_f16_e32 v63, 0xbbc4, v60
	v_add_f16_e32 v56, v56, v18
	v_add_f16_e32 v54, v54, v15
	v_mul_f16_e32 v95, 0xbb7b, v66
	v_mul_f16_e32 v97, 0xb3a8, v66
	;; [unrolled: 1-line block ×12, first 2 shown]
	v_fma_f16 v76, v61, 0x3b15, -v76
	v_fma_f16 v131, 0x388b, v61, v85
	v_fma_f16 v85, v61, 0x388b, -v85
	v_fma_f16 v133, 0x2fb7, v61, v87
	;; [unrolled: 2-line block ×5, first 2 shown]
	v_fma_f16 v60, v61, 0xbbc4, -v62
	v_fmamk_f16 v62, v65, 0x388b, v93
	v_fma_f16 v140, v64, 0xb5ac, -v94
	v_fma_f16 v142, v64, 0xbbc4, -v96
	v_fmac_f16_e32 v96, 0xbbc4, v64
	v_fma_f16 v144, v64, 0xb9fd, -v98
	v_fmac_f16_e32 v98, 0xb9fd, v64
	;; [unrolled: 2-line block ×3, first 2 shown]
	v_add_f16_e32 v58, v77, v17
	v_add_f16_e32 v59, v78, v53
	;; [unrolled: 1-line block ×3, first 2 shown]
	v_add_f16_e64 v77, v130, v17
	v_add_f16_e32 v84, v84, v17
	v_add_f16_e64 v130, v132, v17
	v_add_f16_e32 v86, v86, v17
	;; [unrolled: 2-line block ×5, first 2 shown]
	v_add_f16_e32 v56, v56, v20
	v_add_f16_e32 v54, v54, v19
	v_mul_f16_e32 v105, 0xb3a8, v70
	v_mul_f16_e32 v107, 0x3b7b, v70
	;; [unrolled: 1-line block ×12, first 2 shown]
	v_fma_f16 v61, v64, 0x388b, -v92
	v_fmac_f16_e32 v92, 0x388b, v64
	v_fmac_f16_e32 v94, 0xb5ac, v64
	v_fma_f16 v146, v64, 0x2fb7, -v100
	v_fmac_f16_e32 v100, 0x2fb7, v64
	v_fma_f16 v149, 0x3b15, v65, v66
	v_fma_f16 v64, v65, 0x3b15, -v66
	v_fmamk_f16 v66, v69, 0x2fb7, v103
	v_fma_f16 v152, v68, 0xb5ac, -v106
	v_fmac_f16_e32 v106, 0xb5ac, v68
	v_fma_f16 v154, v68, 0x3b15, -v108
	v_fmac_f16_e32 v108, 0x3b15, v68
	;; [unrolled: 2-line block ×3, first 2 shown]
	v_add_f16_e32 v76, v76, v53
	v_add_f16_e64 v78, v131, v53
	v_add_f16_e32 v85, v85, v53
	v_add_f16_e64 v131, v133, v53
	v_add_f16_e32 v87, v87, v53
	v_add_f16_e64 v133, v135, v53
	v_add_f16_e32 v89, v89, v53
	v_add_f16_e64 v135, v137, v53
	v_add_f16_e32 v91, v91, v53
	v_add_f16_e64 v137, v139, v53
	v_add_f16_e32 v53, v60, v53
	v_add_f16_e32 v57, v62, v59
	v_add_f16_e64 v60, v140, v77
	v_add_f16_e32 v77, v96, v86
	v_add_f16_e32 v86, v98, v88
	;; [unrolled: 1-line block ×5, first 2 shown]
	v_fma_f16 v93, v65, 0x388b, -v93
	v_fma_f16 v141, 0xb5ac, v65, v95
	v_fma_f16 v95, v65, 0xb5ac, -v95
	v_fma_f16 v143, 0xbbc4, v65, v97
	;; [unrolled: 2-line block ×4, first 2 shown]
	v_fma_f16 v101, v65, 0x2fb7, -v101
	v_fma_f16 v65, v68, 0x2fb7, -v102
	v_fmac_f16_e32 v102, 0x2fb7, v68
	v_fma_f16 v150, v68, 0xbbc4, -v104
	v_fmac_f16_e32 v104, 0xbbc4, v68
	;; [unrolled: 2-line block ×3, first 2 shown]
	v_fma_f16 v159, 0xb9fd, v69, v70
	v_fma_f16 v68, v69, 0xb9fd, -v70
	v_fmamk_f16 v70, v73, 0xb5ac, v113
	v_fma_f16 v164, v72, 0x2fb7, -v118
	v_fmac_f16_e32 v118, 0x2fb7, v72
	v_fma_f16 v168, v72, 0x388b, -v79
	v_fmac_f16_e32 v79, 0x388b, v72
	v_add_f16_e32 v57, v66, v57
	v_add_f16_e32 v66, v106, v77
	;; [unrolled: 1-line block ×11, first 2 shown]
	v_mul_f16_e32 v115, 0x394e, v74
	v_mul_f16_e32 v117, 0x3770, v74
	v_fma_f16 v151, 0xbbc4, v69, v105
	v_fma_f16 v153, 0xb5ac, v69, v107
	v_fma_f16 v107, v69, 0xb5ac, -v107
	v_add_f16_e32 v55, v61, v58
	v_add_f16_e64 v61, v141, v78
	v_add_f16_e32 v78, v97, v87
	v_add_f16_e32 v17, v17, v22
	;; [unrolled: 1-line block ×3, first 2 shown]
	v_mul_f16_e32 v119, 0xbbf1, v74
	v_mul_f16_e32 v125, 0x3bf1, v82
	;; [unrolled: 1-line block ×3, first 2 shown]
	v_fma_f16 v155, 0x3b15, v69, v109
	v_fma_f16 v161, 0xb9fd, v73, v115
	;; [unrolled: 1-line block ×3, first 2 shown]
	v_fma_f16 v117, v73, 0x3b15, -v117
	v_add_f16_e32 v58, v92, v75
	v_add_f16_e32 v59, v93, v76
	;; [unrolled: 1-line block ×3, first 2 shown]
	v_add_f16_e64 v75, v142, v130
	v_add_f16_e64 v76, v143, v131
	;; [unrolled: 1-line block ×4, first 2 shown]
	v_add_f16_e32 v67, v107, v78
	v_add_f16_e32 v17, v17, v21
	;; [unrolled: 1-line block ×3, first 2 shown]
	v_mul_f16_e32 v121, 0x33a8, v74
	v_mul_f16_e32 v74, 0x3a95, v74
	;; [unrolled: 1-line block ×4, first 2 shown]
	v_mul_f16_e64 v129, 0x33a8, v82
	v_fma_f16 v103, v69, 0x2fb7, -v103
	v_fma_f16 v105, v69, 0xbbc4, -v105
	;; [unrolled: 1-line block ×3, first 2 shown]
	v_fma_f16 v157, 0x388b, v69, v111
	v_fma_f16 v111, v69, 0x388b, -v111
	v_fma_f16 v69, v72, 0xb5ac, -v112
	v_fmac_f16_e32 v112, 0xb5ac, v72
	v_fma_f16 v162, v72, 0x3b15, -v116
	v_fma_f16 v165, 0x2fb7, v73, v119
	v_fma_f16 v171, 0x2fb7, v81, v125
	;; [unrolled: 1-line block ×3, first 2 shown]
	v_fma_f16 v127, v81, 0x388b, -v127
	v_add_f16_e32 v62, v94, v84
	v_add_f16_e64 v84, v144, v132
	v_add_f16_e64 v88, v146, v134
	;; [unrolled: 1-line block ×3, first 2 shown]
	v_add_f16_e32 v53, v64, v53
	v_add_f16_e32 v55, v65, v55
	;; [unrolled: 1-line block ×3, first 2 shown]
	v_add_f16_e64 v64, v152, v75
	v_add_f16_e64 v65, v153, v76
	;; [unrolled: 1-line block ×4, first 2 shown]
	v_add_f16_e32 v67, v117, v67
	v_lshlrev_b32_e32 v17, 16, v17
	v_and_b32_e32 v21, 0xffff, v21
	v_mul_f16_e32 v124, 0x3bf1, v83
	v_mul_f16_e64 v128, 0x33a8, v83
	v_fma_f16 v113, v73, 0xb5ac, -v113
	v_fma_f16 v160, v72, 0xb9fd, -v114
	v_fmac_f16_e32 v114, 0xb9fd, v72
	v_fma_f16 v115, v73, 0xb9fd, -v115
	v_fmac_f16_e32 v116, 0x3b15, v72
	v_fma_f16 v119, v73, 0x2fb7, -v119
	v_fma_f16 v166, v72, 0xbbc4, -v120
	v_fma_f16 v167, 0xbbc4, v73, v121
	v_fmac_f16_e32 v120, 0xbbc4, v72
	v_fma_f16 v121, v73, 0xbbc4, -v121
	v_fma_f16 v169, 0x388b, v73, v74
	v_fma_f16 v72, v73, 0x388b, -v74
	v_fma_f16 v73, v80, 0xb9fd, -v122
	v_fmac_f16_e32 v122, 0xb9fd, v80
	v_fma_f16 v172, v80, 0x388b, -v126
	v_add_f16_e32 v87, v99, v89
	v_add_f16_e64 v89, v147, v135
	v_add_f16_e32 v62, v104, v62
	v_add_f16_e64 v75, v154, v84
	v_add_f16_e64 v84, v156, v88
	;; [unrolled: 1-line block ×3, first 2 shown]
	v_add_f16_e32 v55, v69, v55
	v_add_f16_e32 v58, v112, v58
	v_add_f16_e64 v64, v162, v64
	v_add_f16_e64 v69, v165, v76
	;; [unrolled: 1-line block ×3, first 2 shown]
	v_add_f16_e32 v61, v127, v67
	v_or_b32_e32 v17, v17, v21
	v_fma_f16 v21, 0xbbc4, v81, v129
	v_mul_f16_e32 v67, 0xbb7b, v83
	v_fma_f16 v170, v80, 0x2fb7, -v124
	v_fmac_f16_e32 v124, 0x2fb7, v80
	v_fma_f16 v174, v80, 0xbbc4, -v128
	v_add_f16_e64 v85, v157, v89
	v_add_f16_e32 v53, v68, v53
	v_add_f16_e32 v62, v114, v62
	v_add_f16_e64 v68, v164, v75
	v_add_f16_e64 v33, v168, v88
	v_add_f16_e32 v23, v122, v58
	v_add_f16_e64 v58, v172, v64
	v_add_f16_e32 v64, v21, v69
	v_mul_f16_e32 v21, 0x3770, v82
	v_fma_f16 v69, v80, 0xb5ac, -v67
	v_mul_f16_e32 v123, 0xb94e, v82
	v_add_f16_e32 v91, v101, v91
	v_add_f16_e32 v63, v105, v63
	v_add_f16_e64 v54, v167, v85
	v_add_f16_e32 v26, v124, v62
	v_add_f16_e64 v62, v174, v68
	v_fmamk_f16 v68, v81, 0x3b15, v21
	v_add_f16_e32 v33, v69, v33
	v_sub_f16_e32 v69, v15, v19
	v_fmamk_f16 v74, v81, 0xb9fd, v123
	v_fma_f16 v125, v81, 0x2fb7, -v125
	v_add_f16_e64 v93, v149, v137
	v_add_f16_e32 v59, v103, v59
	v_add_f16_e32 v78, v109, v87
	;; [unrolled: 1-line block ×7, first 2 shown]
	v_mul_f16_e32 v54, 0xbb7b, v82
	v_sub_f16_e32 v72, v18, v20
	v_add_f16_e32 v73, v18, v20
	v_mul_f16_e32 v20, 0xb3a8, v69
	v_fma_f16 v123, v81, 0xb9fd, -v123
	v_add_f16_e32 v90, v100, v90
	v_add_f16_e64 v89, v159, v93
	v_add_f16_e32 v59, v113, v59
	v_add_f16_e64 v65, v163, v65
	v_add_f16_e32 v71, v119, v78
	v_add_f16_e32 v76, v121, v87
	;; [unrolled: 1-line block ×4, first 2 shown]
	v_mul_f16_e32 v55, 0x3770, v83
	v_fma_f16 v63, v81, 0xbbc4, -v129
	v_fma_f16 v21, v81, 0x3b15, -v21
	v_fma_f16 v18, v81, 0xb5ac, -v54
	v_add_f16_e32 v74, v15, v19
	v_mul_f16_e32 v15, 0xb3a8, v72
	v_fma_f16 v19, v73, 0xbbc4, -v20
	v_add_f16_e64 v60, v150, v60
	v_add_f16_e32 v86, v110, v90
	v_add_f16_e64 v75, v166, v84
	v_add_f16_e64 v52, v169, v89
	v_add_f16_e32 v27, v123, v59
	v_add_f16_e64 v59, v173, v65
	v_fma_f16 v65, v80, 0x3b15, -v55
	v_add_f16_e32 v63, v63, v71
	v_add_f16_e32 v71, v21, v76
	v_fmamk_f16 v21, v81, 0xb5ac, v54
	v_add_f16_e32 v76, v18, v24
	v_add_f16_e32 v18, v19, v25
	v_fma_f16 v19, v74, 0xbbc4, -v15
	v_fmac_f16_e32 v126, 0x388b, v80
	v_add_f16_e64 v60, v160, v60
	v_add_f16_e32 v66, v116, v66
	v_add_f16_e32 v56, v120, v86
	v_fmac_f16_e64 v128, 0xbbc4, v80
	v_add_f16_e32 v65, v65, v75
	v_fmac_f16_e32 v55, 0x3b15, v80
	v_add_f16_e32 v75, v21, v52
	v_fmamk_f16 v21, v74, 0xbbc4, v15
	v_mul_f16_e32 v24, 0x3770, v69
	v_fmac_f16_e32 v20, 0xbbc4, v73
	v_mul_f16_e32 v25, 0x3770, v72
	v_add_f16_e32 v52, v19, v27
	v_mul_f16_e32 v19, 0xb94e, v69
	v_add_f16_e64 v53, v170, v60
	v_add_f16_e32 v60, v126, v66
	v_add_f16_e64 v66, v128, v70
	v_add_f16_e32 v70, v55, v56
	v_add_f16_e32 v55, v21, v28
	v_fma_f16 v21, v73, 0x3b15, -v24
	v_add_f16_e32 v15, v20, v23
	v_fmamk_f16 v20, v74, 0x3b15, v25
	v_fmac_f16_e32 v24, 0x3b15, v73
	v_fma_f16 v23, v74, 0x3b15, -v25
	v_fma_f16 v25, v73, 0xb9fd, -v19
	v_mul_f16_e32 v27, 0xb94e, v72
	v_add_f16_e32 v56, v20, v22
	v_add_f16_e32 v20, v24, v26
	v_mul_f16_e32 v26, 0x3a95, v72
	v_add_f16_e32 v22, v25, v58
	v_fma_f16 v25, v74, 0xb9fd, -v27
	v_add_f16_e32 v21, v21, v53
	v_add_f16_e32 v53, v23, v57
	v_fmamk_f16 v23, v74, 0xb9fd, v27
	v_mul_f16_e32 v24, 0x3a95, v69
	v_fmac_f16_e32 v19, 0xb9fd, v73
	v_add_f16_e32 v54, v25, v61
	v_fmamk_f16 v25, v74, 0x388b, v26
	v_mul_f16_e32 v27, 0xbb7b, v69
	v_fma_f16 v28, v74, 0x388b, -v26
	v_add_f16_e32 v58, v23, v59
	v_fma_f16 v23, v73, 0x388b, -v24
	v_add_f16_e32 v19, v19, v60
	v_fmac_f16_e32 v24, 0x388b, v73
	v_add_f16_e32 v59, v25, v64
	v_fma_f16 v25, v73, 0xb5ac, -v27
	v_mul_f16_e32 v60, 0xbb7b, v72
	v_add_f16_e32 v57, v28, v63
	v_mul_f16_e32 v28, 0x3bf1, v69
	v_fmac_f16_e32 v67, 0xb5ac, v80
	v_add_f16_e32 v23, v23, v62
	v_add_f16_e32 v26, v24, v66
	;; [unrolled: 1-line block ×3, first 2 shown]
	v_fmamk_f16 v25, v74, 0xb5ac, v60
	v_fmac_f16_e32 v27, 0xb5ac, v73
	v_fma_f16 v62, v73, 0x2fb7, -v28
	v_mul_f16_e32 v63, 0x3bf1, v72
	v_add_f16_e32 v67, v67, v77
	v_add_f16_e32 v61, v25, v68
	;; [unrolled: 1-line block ×4, first 2 shown]
	v_fmamk_f16 v62, v74, 0x2fb7, v63
	v_fmac_f16_e32 v28, 0x2fb7, v73
	v_fma_f16 v64, v74, 0x2fb7, -v63
	v_fma_f16 v60, v74, 0xb5ac, -v60
	v_lshl_add_u32 v33, v31, 2, v32
	v_pack_b32_f16 v65, v18, v55
	v_pack_b32_f16 v66, v21, v56
	;; [unrolled: 1-line block ×3, first 2 shown]
	v_add_f16_e32 v63, v62, v75
	v_add_f16_e32 v28, v28, v67
	;; [unrolled: 1-line block ×4, first 2 shown]
	ds_store_2addr_b32 v33, v17, v65 offset1:17
	ds_store_2addr_b32 v33, v66, v68 offset0:34 offset1:51
	v_pack_b32_f16 v64, v23, v59
	v_pack_b32_f16 v65, v24, v61
	;; [unrolled: 1-line block ×9, first 2 shown]
	ds_store_2addr_b32 v33, v64, v65 offset0:68 offset1:85
	ds_store_2addr_b32 v33, v66, v67 offset0:102 offset1:119
	;; [unrolled: 1-line block ×4, first 2 shown]
	ds_store_b32 v33, v72 offset:816
	global_wb scope:SCOPE_SE
	s_wait_dscnt 0x0
	s_barrier_signal -1
	s_barrier_wait -1
	global_inv scope:SCOPE_SE
	s_and_saveexec_b32 s2, vcc_lo
	s_cbranch_execz .LBB0_9
; %bb.8:
	s_add_nc_u64 s[0:1], s[12:13], 0x374
	s_clause 0x10
	global_load_b32 v80, v30, s[12:13] offset:884
	global_load_b32 v81, v30, s[0:1] offset:52
	;; [unrolled: 1-line block ×17, first 2 shown]
	ds_load_2addr_b32 v[64:65], v33 offset1:13
	ds_load_2addr_b32 v[66:67], v33 offset0:26 offset1:39
	ds_load_2addr_b32 v[68:69], v33 offset0:52 offset1:65
	;; [unrolled: 1-line block ×7, first 2 shown]
	ds_load_b32 v97, v33 offset:832
	s_wait_dscnt 0x8
	v_lshrrev_b32_e32 v98, 16, v64
	v_lshrrev_b32_e32 v99, 16, v65
	s_wait_dscnt 0x7
	v_lshrrev_b32_e32 v100, 16, v66
	v_lshrrev_b32_e32 v101, 16, v67
	;; [unrolled: 3-line block ×8, first 2 shown]
	s_wait_dscnt 0x0
	v_lshrrev_b32_e32 v114, 16, v97
	s_wait_loadcnt 0x10
	v_lshrrev_b32_e32 v115, 16, v80
	s_wait_loadcnt 0xf
	;; [unrolled: 2-line block ×17, first 2 shown]
	v_lshrrev_b32_e32 v131, 16, v96
	v_mul_f16_e64 v132, v98, v115
	v_mul_f16_e32 v115, v64, v115
	v_mul_f16_e64 v133, v99, v116
	v_mul_f16_e32 v116, v65, v116
	;; [unrolled: 2-line block ×13, first 2 shown]
	v_mul_f16_e64 v145, v111, v128
	v_mul_f16_e64 v128, v77, v128
	;; [unrolled: 1-line block ×8, first 2 shown]
	v_fma_f16 v64, v64, v80, -v132
	v_fmac_f16_e32 v115, v98, v80
	v_fma_f16 v65, v65, v81, -v133
	v_fmac_f16_e32 v116, v99, v81
	;; [unrolled: 2-line block ×13, first 2 shown]
	v_fma_f16 v77, v77, v93, -v145
	v_fmac_f16_e64 v128, v111, v93
	v_fma_f16 v78, v78, v94, -v146
	v_fmac_f16_e64 v129, v112, v94
	;; [unrolled: 2-line block ×4, first 2 shown]
	v_pack_b32_f16 v64, v64, v115
	v_pack_b32_f16 v65, v65, v116
	;; [unrolled: 1-line block ×17, first 2 shown]
	ds_store_2addr_b32 v33, v64, v65 offset1:13
	ds_store_2addr_b32 v33, v66, v67 offset0:26 offset1:39
	ds_store_2addr_b32 v33, v68, v69 offset0:52 offset1:65
	;; [unrolled: 1-line block ×7, first 2 shown]
	ds_store_b32 v33, v80 offset:832
.LBB0_9:
	s_wait_alu 0xfffe
	s_or_b32 exec_lo, exec_lo, s2
	global_wb scope:SCOPE_SE
	s_wait_dscnt 0x0
	s_barrier_signal -1
	s_barrier_wait -1
	global_inv scope:SCOPE_SE
	s_and_saveexec_b32 s0, vcc_lo
	s_cbranch_execz .LBB0_11
; %bb.10:
	ds_load_2addr_b32 v[17:18], v33 offset1:13
	ds_load_2addr_b32 v[21:22], v33 offset0:26 offset1:39
	ds_load_2addr_b32 v[23:24], v33 offset0:52 offset1:65
	ds_load_2addr_b32 v[27:28], v33 offset0:78 offset1:91
	ds_load_2addr_b32 v[25:26], v33 offset0:104 offset1:117
	ds_load_2addr_b32 v[19:20], v33 offset0:130 offset1:143
	ds_load_2addr_b32 v[15:16], v33 offset0:156 offset1:169
	ds_load_2addr_b32 v[13:14], v33 offset0:182 offset1:195
	ds_load_b32 v34, v33 offset:832
	s_wait_dscnt 0x8
	v_lshrrev_b32_e32 v55, 16, v18
	s_wait_dscnt 0x7
	v_lshrrev_b32_e32 v56, 16, v21
	v_lshrrev_b32_e32 v58, 16, v22
	s_wait_dscnt 0x6
	v_lshrrev_b32_e32 v59, 16, v23
	;; [unrolled: 3-line block ×8, first 2 shown]
.LBB0_11:
	s_wait_alu 0xfffe
	s_or_b32 exec_lo, exec_lo, s0
	global_wb scope:SCOPE_SE
	s_barrier_signal -1
	s_barrier_wait -1
	global_inv scope:SCOPE_SE
	s_and_saveexec_b32 s0, vcc_lo
	s_cbranch_execz .LBB0_13
; %bb.12:
	v_add_f16_e64 v141, v35, v55
	v_sub_f16_e32 v67, v18, v34
	v_add_f16_e64 v139, v36, v56
	v_lshrrev_b32_e32 v64, 16, v17
	v_sub_f16_e32 v68, v21, v14
	v_mul_f16_e64 v96, 0xbbdd, v141
	v_add_f16_e32 v114, v37, v58
	v_mul_f16_e64 v97, 0x3b76, v139
	v_sub_f16_e32 v65, v22, v13
	v_add_f16_e64 v135, v38, v59
	v_fmamk_f16 v69, v67, 0x31e1, v96
	v_mul_f16_e32 v92, 0xbacd, v114
	v_fmamk_f16 v70, v68, 0xb5c8, v97
	v_sub_f16_e32 v66, v23, v16
	v_add_f16_e32 v125, v52, v61
	v_add_f16_e32 v71, v69, v64
	v_mul_f16_e64 v94, 0x39e9, v135
	v_fmamk_f16 v72, v65, 0x3836, v92
	v_sub_f16_e32 v69, v24, v15
	v_add_f16_e32 v126, v53, v63
	v_add_f16_e32 v71, v70, v71
	v_sub_f16_e64 v157, v55, v35
	v_mul_f16_e32 v95, 0xb8d2, v125
	v_fmamk_f16 v73, v66, 0xb964, v94
	v_sub_f16_e32 v70, v27, v20
	v_add_f16_e32 v72, v72, v71
	v_add_f16_e32 v71, v34, v18
	v_mul_f16_e32 v93, 0x3722, v126
	v_mul_f16_e64 v101, 0xb1e1, v157
	v_fmamk_f16 v74, v69, 0x3a62, v95
	v_add_f16_e32 v73, v73, v72
	v_sub_f16_e64 v165, v56, v36
	v_add_f16_e32 v72, v14, v21
	v_fmamk_f16 v75, v70, 0xbb29, v93
	v_fmamk_f16 v76, v71, 0xbbdd, v101
	v_add_f16_e32 v73, v74, v73
	v_mul_f16_e64 v104, 0x35c8, v165
	v_add_f16_e64 v159, v54, v62
	v_sub_f16_e64 v170, v58, v37
	v_add_f16_e32 v76, v76, v17
	v_add_f16_e32 v77, v75, v73
	v_fmamk_f16 v75, v72, 0x3b76, v104
	v_add_f16_e32 v74, v13, v22
	v_mul_f16_e64 v107, 0xb836, v170
	v_mul_f16_e64 v98, 0xb461, v159
	v_sub_f16_e64 v173, v59, v38
	v_sub_f16_e32 v73, v28, v19
	v_add_f16_e32 v76, v75, v76
	v_fmamk_f16 v78, v74, 0xbacd, v107
	v_add_f16_e32 v75, v16, v23
	v_mul_f16_e64 v102, 0x3964, v173
	v_fmamk_f16 v79, v73, 0x3bb2, v98
	v_sub_f16_e64 v181, v61, v52
	v_add_f16_e64 v176, v57, v60
	v_mul_f16_e64 v119, 0xbacd, v141
	v_add_f16_e32 v78, v78, v76
	v_fmamk_f16 v80, v75, 0x39e9, v102
	v_add_f16_e32 v76, v15, v24
	v_mul_f16_e64 v103, 0xba62, v181
	v_add_f16_e32 v77, v79, v77
	v_sub_f16_e64 v168, v63, v53
	v_mul_f16_e64 v100, 0x2de8, v176
	v_sub_f16_e32 v79, v25, v26
	v_fmamk_f16 v83, v67, 0x3836, v119
	v_mul_f16_e64 v120, 0x3722, v139
	v_add_f16_e32 v80, v80, v78
	v_fmamk_f16 v81, v76, 0xb8d2, v103
	v_add_f16_e32 v78, v20, v27
	v_mul_f16_e64 v106, 0x3b29, v168
	v_sub_f16_e64 v171, v62, v54
	v_fmamk_f16 v84, v79, 0xbbf7, v100
	v_add_f16_e32 v83, v83, v64
	v_fmamk_f16 v85, v68, 0xbb29, v120
	v_mul_f16_e32 v121, 0x2de8, v114
	v_add_f16_e32 v81, v81, v80
	v_fmamk_f16 v82, v78, 0x3722, v106
	v_add_f16_e32 v80, v19, v28
	v_mul_f16_e64 v105, 0xbbb2, v171
	v_add_f16_e32 v77, v84, v77
	v_add_f16_e32 v83, v85, v83
	v_fmamk_f16 v84, v65, 0x3bf7, v121
	v_mul_f16_e64 v109, 0xb8d2, v135
	v_mul_f16_e64 v127, 0xb836, v157
	v_add_f16_e32 v81, v82, v81
	v_fmamk_f16 v82, v80, 0xb461, v105
	v_sub_f16_e64 v174, v60, v57
	v_add_f16_e32 v83, v84, v83
	v_fmamk_f16 v84, v66, 0xba62, v109
	v_mul_f16_e32 v122, 0x3b76, v125
	v_fmamk_f16 v86, v71, 0xbacd, v127
	v_mul_f16_e64 v128, 0x3b29, v165
	v_add_f16_e32 v82, v82, v81
	v_add_f16_e32 v81, v26, v25
	v_mul_f16_e64 v108, 0x3bf7, v174
	v_add_f16_e32 v83, v84, v83
	v_fmamk_f16 v84, v69, 0x35c8, v122
	v_mul_f16_e32 v110, 0xbbdd, v126
	v_add_f16_e32 v86, v86, v17
	v_fma_f16 v87, 0x3722, v72, v128
	v_mul_f16_e64 v131, 0xbbf7, v170
	v_fmamk_f16 v85, v81, 0x2de8, v108
	v_add_f16_e32 v83, v84, v83
	v_fmamk_f16 v84, v70, 0x31e1, v110
	v_mul_f16_e64 v111, 0x39e9, v159
	v_add_f16_e32 v86, v87, v86
	v_fma_f16 v87, 0x2de8, v74, v131
	v_mul_f16_e64 v116, 0x3a62, v173
	v_add_f16_e32 v83, v84, v83
	v_fmamk_f16 v84, v73, 0xb964, v111
	v_add_f16_e32 v82, v85, v82
	v_add_f16_e32 v85, v87, v86
	v_fmamk_f16 v86, v75, 0xb8d2, v116
	v_mul_f16_e64 v117, 0xb5c8, v181
	v_mul_f16_e64 v136, 0xb8d2, v141
	v_add_f16_e32 v83, v84, v83
	v_mul_f16_e64 v115, 0xb461, v176
	v_add_f16_e32 v84, v86, v85
	v_fmamk_f16 v85, v76, 0x3b76, v117
	v_mul_f16_e64 v112, 0xb1e1, v168
	v_fma_f16 v87, 0x3a62, v67, v136
	v_mul_f16_e64 v137, 0xb461, v139
	v_fmamk_f16 v86, v79, 0x3bb2, v115
	v_add_f16_e32 v84, v85, v84
	v_fmamk_f16 v85, v78, 0xbbdd, v112
	v_mul_f16_e64 v113, 0x3964, v171
	v_add_f16_e32 v87, v87, v64
	v_fma_f16 v88, 0xbbb2, v68, v137
	v_mul_f16_e32 v123, 0x3b76, v114
	v_add_f16_e32 v84, v85, v84
	v_fmamk_f16 v85, v80, 0x39e9, v113
	v_add_f16_e32 v83, v86, v83
	v_add_f16_e32 v86, v88, v87
	v_fmamk_f16 v87, v65, 0x35c8, v123
	v_mul_f16_e64 v124, 0xbacd, v135
	v_mul_f16_e64 v151, 0xba62, v157
	v_add_f16_e32 v84, v85, v84
	v_mul_f16_e64 v134, 0x2de8, v125
	v_add_f16_e32 v85, v87, v86
	v_fmamk_f16 v86, v66, 0x3836, v124
	v_fma_f16 v88, 0xb8d2, v71, v151
	v_mul_f16_e64 v153, 0x3bb2, v165
	v_mul_f16_e64 v118, 0xbbb2, v174
	;; [unrolled: 1-line block ×3, first 2 shown]
	v_add_f16_e32 v85, v86, v85
	v_fma_f16 v86, 0xbbf7, v69, v134
	v_add_f16_e32 v88, v88, v17
	v_fma_f16 v89, 0xb461, v72, v153
	v_mul_f16_e64 v154, 0xb5c8, v170
	v_fmamk_f16 v87, v81, 0xb461, v118
	v_add_f16_e32 v85, v86, v85
	v_fma_f16 v86, 0x3964, v70, v129
	v_mul_f16_e64 v130, 0xbbdd, v159
	v_add_f16_e32 v88, v89, v88
	v_fma_f16 v89, 0x3b76, v74, v154
	v_mul_f16_e64 v155, 0xb836, v173
	v_add_f16_e32 v85, v86, v85
	v_fma_f16 v86, 0x31e1, v73, v130
	v_add_f16_e32 v84, v87, v84
	v_add_f16_e32 v87, v89, v88
	v_fma_f16 v88, 0xbacd, v75, v155
	v_mul_f16_e64 v142, 0x3bf7, v181
	v_mul_f16_e64 v160, 0xb461, v141
	v_add_f16_e32 v85, v86, v85
	v_mul_f16_e64 v132, 0x3722, v176
	v_add_f16_e32 v86, v88, v87
	v_fma_f16 v87, 0x2de8, v76, v142
	v_mul_f16_e64 v156, 0xb964, v168
	v_fma_f16 v89, 0x3bb2, v67, v160
	v_mul_f16_e64 v161, 0xbacd, v139
	v_fma_f16 v88, 0xbb29, v79, v132
	v_add_f16_e32 v86, v87, v86
	v_fma_f16 v87, 0x39e9, v78, v156
	v_mul_f16_e64 v133, 0xb1e1, v171
	v_add_f16_e32 v89, v89, v64
	v_fma_f16 v90, 0xb836, v68, v161
	v_mul_f16_e64 v138, 0x39e9, v114
	v_add_f16_e32 v86, v87, v86
	v_fma_f16 v87, 0xbbdd, v80, v133
	v_add_f16_e32 v85, v88, v85
	v_add_f16_e32 v88, v90, v89
	v_fma_f16 v89, 0xb964, v65, v138
	v_mul_f16_e64 v140, 0x3722, v135
	v_mul_f16_e64 v175, 0xbbb2, v157
	v_add_f16_e32 v86, v87, v86
	v_mul_f16_e64 v143, 0xbbdd, v125
	v_add_f16_e32 v87, v89, v88
	v_fma_f16 v88, 0x3b29, v66, v140
	v_fma_f16 v90, 0xb461, v71, v175
	v_mul_f16_e64 v177, 0x3836, v165
	v_mul_f16_e64 v147, 0x3b29, v174
	;; [unrolled: 1-line block ×3, first 2 shown]
	v_add_f16_e32 v87, v88, v87
	v_fma_f16 v88, 0x31e1, v69, v143
	v_add_f16_e32 v90, v90, v17
	v_fma_f16 v91, 0xbacd, v72, v177
	v_mul_f16_e64 v182, 0x3964, v170
	v_fma_f16 v89, 0x3722, v81, v147
	v_add_f16_e32 v87, v88, v87
	v_fma_f16 v88, 0xbbf7, v70, v144
	v_mul_f16_e64 v145, 0x3b76, v159
	v_add_f16_e32 v90, v91, v90
	v_fma_f16 v91, 0x39e9, v74, v182
	v_mul_f16_e64 v162, 0xbb29, v173
	v_add_f16_e32 v87, v88, v87
	v_fma_f16 v88, 0x35c8, v73, v145
	v_add_f16_e32 v86, v89, v86
	v_add_f16_e32 v89, v91, v90
	v_fma_f16 v90, 0x3722, v75, v162
	v_mul_f16_e64 v163, 0xb1e1, v181
	v_mul_f16_e64 v193, 0x2de8, v141
	v_add_f16_e32 v87, v88, v87
	v_mul_f16_e64 v152, 0xb8d2, v176
	v_add_f16_e32 v88, v90, v89
	v_fma_f16 v89, 0xbbdd, v76, v163
	v_mul_f16_e64 v178, 0x3bf7, v168
	v_fma_f16 v91, 0x3bf7, v67, v193
	v_mul_f16_e64 v194, 0xbbdd, v139
	v_fma_f16 v90, 0x3a62, v79, v152
	v_add_f16_e32 v88, v89, v88
	v_fma_f16 v89, 0x2de8, v78, v178
	v_mul_f16_e64 v158, 0xb5c8, v171
	v_add_f16_e32 v91, v91, v64
	v_fma_f16 v99, 0x31e1, v68, v194
	v_mul_f16_e64 v195, 0xb461, v114
	v_add_f16_e32 v88, v89, v88
	v_fma_f16 v89, 0x3b76, v80, v158
	v_add_f16_e32 v87, v90, v87
	v_add_f16_e32 v90, v99, v91
	v_fma_f16 v91, 0xbbb2, v65, v195
	v_mul_f16_e64 v172, 0x3b76, v135
	v_mul_f16_e64 v199, 0xbbf7, v157
	v_add_f16_e32 v88, v89, v88
	v_mul_f16_e64 v196, 0x3722, v125
	v_add_f16_e32 v89, v91, v90
	v_fma_f16 v90, 0xb5c8, v66, v172
	v_fma_f16 v99, 0x2de8, v71, v199
	v_mul_f16_e64 v200, 0xb1e1, v165
	v_mul_f16_e64 v169, 0xba62, v174
	;; [unrolled: 1-line block ×3, first 2 shown]
	v_add_f16_e32 v89, v90, v89
	v_fma_f16 v90, 0x3b29, v69, v196
	v_add_f16_e32 v99, v99, v17
	v_fma_f16 v146, 0xbbdd, v72, v200
	v_mul_f16_e64 v204, 0x3bb2, v170
	v_fma_f16 v91, 0xb8d2, v81, v169
	v_add_f16_e32 v89, v90, v89
	v_fma_f16 v90, 0x3836, v70, v179
	v_mul_f16_e64 v180, 0xb8d2, v159
	v_add_f16_e64 v99, v146, v99
	v_fma_f16 v146, 0xb461, v74, v204
	v_mul_f16_e64 v190, 0x35c8, v173
	v_add_f16_e32 v89, v90, v89
	v_fma_f16 v90, 0xba62, v73, v180
	v_add_f16_e32 v88, v91, v88
	v_add_f16_e64 v91, v146, v99
	v_fma_f16 v99, 0x3b76, v75, v190
	v_mul_f16_e64 v191, 0xbb29, v181
	v_mul_f16_e64 v209, 0x3722, v141
	v_add_f16_e32 v89, v90, v89
	v_mul_f16_e64 v188, 0x39e9, v176
	v_add_f16_e32 v90, v99, v91
	v_fma_f16 v91, 0x3722, v76, v191
	v_mul_f16_e64 v183, 0xb836, v168
	v_fma_f16 v146, 0x3b29, v67, v209
	v_mul_f16_e64 v210, 0xb8d2, v139
	v_fma_f16 v99, 0xb964, v79, v188
	v_add_f16_e32 v90, v91, v90
	v_fma_f16 v91, 0xbacd, v78, v183
	v_mul_f16_e64 v185, 0x3a62, v171
	v_add_f16_e64 v146, v146, v64
	v_fma_f16 v148, 0x3a62, v68, v210
	v_mul_f16_e64 v197, 0xbbdd, v114
	v_add_f16_e32 v90, v91, v90
	v_fma_f16 v91, 0xb8d2, v80, v185
	v_add_f16_e32 v89, v99, v89
	v_add_f16_e64 v99, v148, v146
	v_fma_f16 v146, 0xb1e1, v65, v197
	v_mul_f16_e64 v198, 0xb461, v135
	v_mul_f16_e64 v215, 0xbb29, v157
	v_add_f16_e32 v90, v91, v90
	v_mul_f16_e64 v208, 0x39e9, v125
	v_add_f16_e64 v91, v146, v99
	v_fma_f16 v99, 0xbbb2, v66, v198
	v_fma_f16 v148, 0x3722, v71, v215
	v_mul_f16_e64 v216, 0xba62, v165
	v_mul_f16_e64 v192, 0x3964, v174
	;; [unrolled: 1-line block ×3, first 2 shown]
	v_add_f16_e32 v91, v99, v91
	v_fma_f16 v99, 0xb964, v69, v208
	v_add_f16_e64 v148, v148, v17
	v_fma_f16 v149, 0xb8d2, v72, v216
	v_mul_f16_e64 v217, 0x31e1, v170
	v_fma_f16 v146, 0x39e9, v81, v192
	v_add_f16_e32 v91, v99, v91
	v_fma_f16 v99, 0x35c8, v70, v202
	v_mul_f16_e64 v203, 0x2de8, v159
	v_add_f16_e64 v148, v149, v148
	v_fma_f16 v149, 0xbbdd, v74, v217
	v_mul_f16_e64 v218, 0x3bb2, v173
	v_add_f16_e32 v91, v99, v91
	v_fma_f16 v99, 0x3bf7, v73, v203
	v_add_f16_e64 v90, v146, v90
	v_add_f16_e64 v146, v149, v148
	v_fma_f16 v148, 0xb461, v75, v218
	v_mul_f16_e64 v213, 0x3964, v181
	v_mul_f16_e64 v220, 0x39e9, v141
	v_add_f16_e32 v91, v99, v91
	v_mul_f16_e64 v206, 0xbacd, v176
	v_add_f16_e64 v99, v148, v146
	v_fma_f16 v146, 0x39e9, v76, v213
	v_mul_f16_e64 v219, 0xb5c8, v168
	v_fma_f16 v149, 0x3964, v67, v220
	v_mul_f16_e64 v221, 0x2de8, v139
	v_fma_f16 v148, 0x3836, v79, v206
	v_add_f16_e64 v99, v146, v99
	v_fma_f16 v146, 0x3b76, v78, v219
	v_mul_f16_e64 v207, 0xbbf7, v171
	v_add_f16_e64 v149, v149, v64
	v_fma_f16 v150, 0x3bf7, v68, v221
	v_mul_f16_e64 v211, 0xb8d2, v114
	v_add_f16_e64 v99, v146, v99
	v_fma_f16 v146, 0x2de8, v80, v207
	v_add_f16_e64 v91, v148, v91
	v_add_f16_e64 v148, v150, v149
	v_fma_f16 v149, 0x3a62, v65, v211
	v_mul_f16_e64 v212, 0xbbdd, v135
	v_mul_f16_e64 v222, 0xb964, v157
	v_add_f16_e64 v99, v146, v99
	v_mul_f16_e64 v223, 0xbbf7, v165
	v_add_f16_e64 v146, v149, v148
	v_fma_f16 v148, 0x31e1, v66, v212
	v_mul_f16_e64 v149, 0xbacd, v125
	v_fma_f16 v164, 0x39e9, v71, v222
	v_mul_f16_e64 v214, 0xb836, v174
	v_mul_f16_e64 v150, 0xb461, v126
	v_add_f16_e64 v146, v148, v146
	v_fma_f16 v148, 0xb836, v69, v149
	v_add_f16_e64 v164, v164, v17
	v_fma_f16 v167, 0x2de8, v72, v223
	v_mul_f16_e64 v224, 0xba62, v170
	v_fma_f16 v166, 0xbacd, v81, v214
	v_add_f16_e64 v146, v148, v146
	v_fma_f16 v184, 0xbbb2, v70, v150
	v_mul_f16_e64 v148, 0x3722, v159
	v_add_f16_e64 v167, v167, v164
	v_fma_f16 v186, 0xb8d2, v74, v224
	v_mul_f16_e64 v164, 0xb1e1, v173
	v_add_f16_e64 v146, v184, v146
	v_fma_f16 v184, 0xbb29, v73, v148
	v_add_f16_e64 v99, v166, v99
	v_add_f16_e64 v167, v186, v167
	v_fma_f16 v186, 0xbbdd, v75, v164
	v_mul_f16_e64 v166, 0x3836, v181
	v_mul_f16_e64 v141, 0x3b76, v141
	v_add_f16_e64 v187, v184, v146
	v_mul_f16_e64 v146, 0x3b76, v176
	v_add_f16_e64 v184, v186, v167
	v_fma_f16 v189, 0xbacd, v76, v166
	v_mul_f16_e64 v186, 0x3bb2, v168
	v_fma_f16 v205, 0x35c8, v67, v141
	v_mul_f16_e64 v167, 0x39e9, v139
	v_fma_f16 v201, 0xb5c8, v79, v146
	v_add_f16_e64 v189, v189, v184
	v_fma_f16 v225, 0xb461, v78, v186
	v_mul_f16_e64 v184, 0x3b29, v171
	v_add_f16_e64 v205, v205, v64
	v_fma_f16 v226, 0x3964, v68, v167
	v_mul_f16_e64 v139, 0x3722, v114
	v_add_f16_e64 v189, v225, v189
	v_fma_f16 v225, 0x3722, v80, v184
	v_add_f16_e64 v114, v201, v187
	v_add_f16_e64 v205, v226, v205
	v_fma_f16 v226, 0x3b29, v65, v139
	v_mul_f16_e64 v135, 0x2de8, v135
	v_mul_f16_e64 v201, 0xb5c8, v157
	v_add_f16_e64 v225, v225, v189
	v_mul_f16_e64 v189, 0xb461, v125
	v_add_f16_e64 v157, v226, v205
	v_fma_f16 v205, 0x3bf7, v66, v135
	v_fma_f16 v226, 0x3b76, v71, v201
	v_mul_f16_e64 v165, 0xb964, v165
	v_mul_f16_e64 v187, 0x35c8, v174
	v_fma_f16 v227, 0x3bb2, v69, v189
	v_add_f16_e64 v205, v205, v157
	v_mul_f16_e64 v157, 0xb8d2, v126
	v_add_f16_e64 v126, v226, v17
	v_fma_f16 v226, 0x39e9, v72, v165
	v_mul_f16_e64 v170, 0xbb29, v170
	v_fma_f16 v125, 0x3b76, v81, v187
	v_add_f16_e64 v227, v227, v205
	v_fma_f16 v228, 0x3a62, v70, v157
	v_mul_f16_e64 v159, 0xbacd, v159
	v_add_f16_e64 v126, v226, v126
	v_fma_f16 v226, 0x3722, v74, v170
	v_mul_f16_e64 v205, 0xbbf7, v173
	v_add_f16_e64 v227, v228, v227
	v_fma_f16 v228, 0x3836, v73, v159
	v_add_f16_e64 v125, v125, v225
	v_add_f16_e64 v225, v226, v126
	v_fma_f16 v226, 0x2de8, v75, v205
	v_mul_f16_e64 v126, 0xbbdd, v176
	v_fmac_f16_e32 v96, 0xb1e1, v67
	v_mul_f16_e64 v173, 0xbbb2, v181
	v_add_f16_e64 v181, v228, v227
	v_add_f16_e64 v176, v226, v225
	v_fma_f16 v226, 0x31e1, v79, v126
	v_add_f16_e64 v227, v96, v64
	v_fmac_f16_e32 v97, 0x35c8, v68
	v_fmac_f16_e32 v92, 0xb836, v65
	v_fma_f16 v101, v71, 0xbbdd, -v101
	v_add_f16_e64 v96, v226, v181
	v_fmac_f16_e32 v94, 0x3964, v66
	v_add_f16_e64 v181, v97, v227
	v_fma_f16 v104, v72, 0x3b76, -v104
	v_add_f16_e32 v101, v101, v17
	v_fmac_f16_e32 v95, 0xba62, v69
	v_fmac_f16_e32 v119, 0xb836, v67
	v_add_f16_e64 v92, v92, v181
	v_fmac_f16_e32 v93, 0x3b29, v70
	v_add_f16_e32 v101, v104, v101
	v_fma_f16 v104, v74, 0xbacd, -v107
	v_fmac_f16_e32 v120, 0x3b29, v68
	v_add_f16_e32 v94, v94, v92
	v_fmac_f16_e32 v98, 0xbbb2, v73
	v_fmac_f16_e32 v121, 0xbbf7, v65
	;; [unrolled: 1-line block ×4, first 2 shown]
	v_add_f16_e32 v94, v95, v94
	v_add_f16_e32 v95, v104, v101
	v_fma_f16 v101, v75, 0x39e9, -v102
	v_add_f16_e32 v102, v119, v64
	v_fmac_f16_e32 v122, 0xb5c8, v69
	v_add_f16_e32 v93, v93, v94
	v_fmac_f16_e32 v110, 0xb1e1, v70
	v_add_f16_e32 v94, v101, v95
	v_fma_f16 v95, v76, 0xb8d2, -v103
	v_add_f16_e32 v101, v120, v102
	v_add_f16_e32 v93, v98, v93
	v_fmac_f16_e64 v136, 0xba62, v67
	v_fmac_f16_e64 v137, 0x3bb2, v68
	v_add_f16_e32 v94, v95, v94
	v_fma_f16 v95, v78, 0x3722, -v106
	v_add_f16_e32 v98, v121, v101
	v_add_f16_e32 v93, v100, v93
	v_fma_f16 v100, v71, 0xbacd, -v127
	v_fma_f16 v101, v72, 0x3722, -v128
	v_add_f16_e32 v94, v95, v94
	v_fma_f16 v95, v80, 0xb461, -v105
	v_add_f16_e32 v98, v109, v98
	v_add_f16_e32 v100, v100, v17
	v_fmac_f16_e32 v123, 0xb5c8, v65
	v_fma_f16 v102, v71, 0xb8d2, -v151
	v_add_f16_e32 v94, v95, v94
	v_fma_f16 v95, v81, 0x2de8, -v108
	v_add_f16_e32 v98, v122, v98
	v_add_f16_e32 v100, v101, v100
	v_fma_f16 v101, v74, 0x2de8, -v131
	v_fmac_f16_e32 v124, 0xb836, v66
	v_add_f16_e32 v94, v95, v94
	v_add_f16_e32 v95, v110, v98
	;; [unrolled: 1-line block ×4, first 2 shown]
	v_fma_f16 v100, v75, 0xb8d2, -v116
	v_add_f16_e64 v101, v136, v64
	v_fma_f16 v103, v72, 0xb461, -v153
	v_fmac_f16_e64 v134, 0x3bf7, v69
	v_fmac_f16_e64 v129, 0xb964, v70
	v_add_f16_e32 v98, v100, v98
	v_fma_f16 v100, v76, 0x3b76, -v117
	v_add_f16_e64 v101, v137, v101
	v_add_f16_e32 v102, v103, v102
	v_fma_f16 v103, v74, 0x3b76, -v154
	v_fmac_f16_e64 v160, 0xbbb2, v67
	v_add_f16_e32 v98, v100, v98
	v_fma_f16 v100, v78, 0xbbdd, -v112
	v_add_f16_e32 v101, v123, v101
	v_add_f16_e32 v102, v103, v102
	v_fma_f16 v103, v75, 0xbacd, -v155
	v_fmac_f16_e64 v161, 0x3836, v68
	v_add_f16_e32 v98, v100, v98
	v_fma_f16 v100, v80, 0x39e9, -v113
	v_add_f16_e32 v101, v124, v101
	v_fmac_f16_e64 v138, 0x3964, v65
	v_fma_f16 v104, v71, 0xb461, -v175
	v_fmac_f16_e64 v140, 0xbb29, v66
	v_add_f16_e32 v98, v100, v98
	v_fma_f16 v100, v81, 0xb461, -v118
	v_add_f16_e64 v101, v134, v101
	v_add_f16_e32 v104, v104, v17
	v_fma_f16 v105, v72, 0xbacd, -v177
	v_fmac_f16_e32 v111, 0x3964, v73
	v_add_f16_e32 v98, v100, v98
	v_add_f16_e64 v100, v129, v101
	v_add_f16_e32 v101, v103, v102
	v_fma_f16 v102, v76, 0x2de8, -v142
	v_add_f16_e64 v103, v160, v64
	v_fma_f16 v110, v71, 0x39e9, -v222
	v_fmac_f16_e64 v143, 0xb1e1, v69
	v_add_f16_e32 v104, v105, v104
	v_add_f16_e32 v101, v102, v101
	v_fma_f16 v102, v78, 0x39e9, -v156
	v_add_f16_e64 v103, v161, v103
	v_fma_f16 v105, v74, 0x39e9, -v182
	v_fmac_f16_e64 v193, 0xbbf7, v67
	v_add_f16_e32 v95, v111, v95
	v_add_f16_e32 v101, v102, v101
	v_fma_f16 v102, v80, 0xbbdd, -v133
	v_add_f16_e64 v103, v138, v103
	v_add_f16_e32 v110, v110, v17
	v_fma_f16 v111, v72, 0x2de8, -v223
	v_add_f16_e32 v55, v55, v64
	v_add_f16_e32 v101, v102, v101
	v_fma_f16 v102, v81, 0x3722, -v147
	v_add_f16_e64 v103, v140, v103
	v_add_f16_e32 v18, v18, v17
	v_fmac_f16_e64 v194, 0xb1e1, v68
	v_add_f16_e32 v110, v111, v110
	v_add_f16_e32 v101, v102, v101
	v_add_f16_e64 v102, v143, v103
	v_add_f16_e32 v103, v105, v104
	v_fma_f16 v104, v75, 0x3722, -v162
	v_add_f16_e64 v105, v193, v64
	v_fma_f16 v111, v74, 0xb8d2, -v224
	v_add_f16_e32 v55, v56, v55
	v_add_f16_e32 v18, v21, v18
	;; [unrolled: 1-line block ×3, first 2 shown]
	v_fma_f16 v104, v76, 0xbbdd, -v163
	v_add_f16_e64 v105, v194, v105
	v_fmac_f16_e64 v195, 0x3bb2, v65
	v_add_f16_e32 v110, v111, v110
	v_fma_f16 v21, v75, 0xbbdd, -v164
	v_add_f16_e32 v55, v58, v55
	v_add_f16_e32 v18, v22, v18
	;; [unrolled: 1-line block ×3, first 2 shown]
	v_fma_f16 v104, v78, 0x2de8, -v178
	v_add_f16_e64 v105, v195, v105
	v_fmac_f16_e64 v172, 0x35c8, v66
	v_fma_f16 v106, v71, 0x2de8, -v199
	v_add_f16_e32 v21, v21, v110
	v_fma_f16 v22, v76, 0xbacd, -v166
	v_add_f16_e32 v55, v59, v55
	v_add_f16_e32 v18, v23, v18
	v_add_f16_e32 v103, v104, v103
	v_fma_f16 v104, v80, 0x3b76, -v158
	v_add_f16_e64 v105, v172, v105
	v_fmac_f16_e64 v196, 0xbb29, v69
	v_add_f16_e32 v106, v106, v17
	v_fma_f16 v107, v72, 0xbbdd, -v200
	v_add_f16_e32 v21, v22, v21
	v_fma_f16 v22, v78, 0xb461, -v186
	v_add_f16_e32 v55, v61, v55
	v_add_f16_e32 v18, v24, v18
	;; [unrolled: 1-line block ×3, first 2 shown]
	v_fma_f16 v104, v81, 0xb8d2, -v169
	v_add_f16_e64 v105, v196, v105
	v_fmac_f16_e64 v179, 0xb836, v70
	v_add_f16_e32 v106, v107, v106
	v_fma_f16 v107, v74, 0xb461, -v204
	v_fmac_f16_e64 v209, 0xbb29, v67
	v_add_f16_e32 v21, v22, v21
	v_add_f16_e32 v22, v63, v55
	;; [unrolled: 1-line block ×4, first 2 shown]
	v_add_f16_e64 v104, v179, v105
	v_add_f16_e32 v105, v107, v106
	v_fma_f16 v106, v75, 0x3b76, -v190
	v_add_f16_e64 v107, v209, v64
	v_fmac_f16_e64 v210, 0xba62, v68
	v_add_f16_e32 v22, v62, v22
	v_add_f16_e32 v18, v28, v18
	;; [unrolled: 1-line block ×3, first 2 shown]
	v_fma_f16 v106, v76, 0x3722, -v191
	v_add_f16_e64 v107, v210, v107
	v_fmac_f16_e64 v197, 0x31e1, v65
	v_fma_f16 v108, v71, 0x3722, -v215
	v_fmac_f16_e64 v141, 0xb5c8, v67
	v_add_f16_e32 v22, v60, v22
	v_add_f16_e32 v18, v25, v18
	;; [unrolled: 1-line block ×3, first 2 shown]
	v_fma_f16 v106, v78, 0xbacd, -v183
	v_add_f16_e64 v107, v197, v107
	v_fmac_f16_e64 v198, 0x3bb2, v66
	v_add_f16_e32 v108, v108, v17
	v_fma_f16 v109, v72, 0xb8d2, -v216
	v_fma_f16 v24, v80, 0x3722, -v184
	v_add_f16_e64 v27, v141, v64
	v_fmac_f16_e64 v167, 0xb964, v68
	v_add_f16_e32 v22, v57, v22
	v_add_f16_e32 v18, v26, v18
	;; [unrolled: 1-line block ×3, first 2 shown]
	v_fma_f16 v106, v80, 0xb8d2, -v185
	v_add_f16_e64 v107, v198, v107
	v_fmac_f16_e64 v208, 0x3964, v69
	v_add_f16_e32 v108, v109, v108
	v_fma_f16 v109, v74, 0xbbdd, -v217
	v_add_f16_e32 v21, v24, v21
	v_add_f16_e64 v24, v167, v27
	v_fma_f16 v27, v71, 0x3b76, -v201
	v_add_f16_e32 v22, v54, v22
	v_add_f16_e32 v18, v19, v18
	v_add_f16_e32 v105, v106, v105
	v_fma_f16 v106, v81, 0x39e9, -v192
	v_add_f16_e64 v107, v208, v107
	v_fmac_f16_e64 v202, 0xb5c8, v70
	v_add_f16_e32 v108, v109, v108
	v_fma_f16 v109, v75, 0xb461, -v218
	v_fmac_f16_e64 v220, 0xb964, v67
	v_add_f16_e32 v17, v27, v17
	v_fma_f16 v19, v72, 0x39e9, -v165
	v_add_f16_e32 v22, v53, v22
	v_add_f16_e32 v18, v20, v18
	;; [unrolled: 1-line block ×3, first 2 shown]
	v_add_f16_e64 v106, v202, v107
	v_add_f16_e32 v107, v109, v108
	v_add_f16_e64 v109, v220, v64
	v_fmac_f16_e64 v221, 0xbbf7, v68
	v_add_f16_e32 v17, v19, v17
	v_fma_f16 v19, v74, 0x3722, -v170
	v_add_f16_e32 v22, v52, v22
	v_add_f16_e32 v15, v15, v18
	v_add_f16_e64 v109, v221, v109
	v_fmac_f16_e64 v211, 0xba62, v65
	v_fmac_f16_e64 v139, 0xbb29, v65
	v_add_f16_e32 v17, v19, v17
	v_fma_f16 v18, v75, 0x2de8, -v205
	v_add_f16_e32 v19, v38, v22
	v_add_f16_e32 v15, v16, v15
	v_fma_f16 v225, 0xb461, v76, v173
	v_mul_f16_e64 v168, 0xba62, v168
	v_add_f16_e64 v109, v211, v109
	v_fmac_f16_e64 v212, 0xb1e1, v66
	v_add_f16_e64 v24, v139, v24
	v_fmac_f16_e64 v135, 0xbbf7, v66
	v_add_f16_e32 v17, v18, v17
	v_add_f16_e32 v18, v37, v19
	;; [unrolled: 1-line block ×3, first 2 shown]
	v_add_f16_e64 v176, v225, v176
	v_fma_f16 v225, 0xb8d2, v78, v168
	v_mul_f16_e64 v171, 0xb836, v171
	v_fma_f16 v108, v76, 0x39e9, -v213
	v_add_f16_e64 v109, v212, v109
	v_fmac_f16_e64 v149, 0x3836, v69
	v_add_f16_e64 v24, v135, v24
	v_fmac_f16_e64 v189, 0xbbb2, v69
	v_fma_f16 v15, v76, 0xb461, -v173
	v_add_f16_e32 v18, v36, v18
	v_add_f16_e32 v13, v14, v13
	v_add_f16_e64 v176, v225, v176
	v_fma_f16 v225, 0xbacd, v80, v171
	v_mul_f16_e64 v97, 0xb1e1, v174
	v_fmac_f16_e64 v144, 0x3bf7, v70
	v_add_f16_e32 v107, v108, v107
	v_fma_f16 v108, v78, 0x3b76, -v219
	v_add_f16_e64 v109, v149, v109
	v_fmac_f16_e64 v150, 0x3bb2, v70
	v_add_f16_e64 v20, v189, v24
	v_fmac_f16_e64 v157, 0xba62, v70
	v_add_f16_e32 v14, v15, v17
	v_fma_f16 v15, v78, 0xb8d2, -v168
	v_add_f16_e32 v17, v35, v18
	v_add_f16_e32 v13, v34, v13
	v_mul_lo_u16 v18, v31, 17
	v_add_f16_e64 v174, v225, v176
	v_fma_f16 v176, 0xbbdd, v81, v97
	v_fmac_f16_e64 v130, 0xb1e1, v73
	v_add_f16_e64 v102, v144, v102
	v_fmac_f16_e64 v145, 0xb5c8, v73
	v_fmac_f16_e64 v180, 0x3a62, v73
	;; [unrolled: 1-line block ×3, first 2 shown]
	v_add_f16_e32 v107, v108, v107
	v_fma_f16 v108, v80, 0x2de8, -v207
	v_add_f16_e64 v56, v150, v109
	v_fmac_f16_e64 v148, 0x3b29, v73
	v_add_f16_e64 v16, v157, v20
	v_fmac_f16_e64 v159, 0xb836, v73
	v_add_f16_e32 v14, v15, v14
	v_fma_f16 v15, v80, 0xbacd, -v171
	v_lshlrev_b32_e32 v17, 16, v17
	v_and_b32_e32 v13, 0xffff, v13
	v_and_b32_e32 v18, 0xffff, v18
	v_add_f16_e64 v92, v176, v174
	v_fmac_f16_e32 v115, 0xbbb2, v79
	v_add_f16_e64 v100, v130, v100
	v_fmac_f16_e64 v132, 0x3b29, v79
	v_add_f16_e64 v102, v145, v102
	v_fmac_f16_e64 v152, 0xba62, v79
	v_fma_f16 v25, v81, 0x3b76, -v187
	v_add_f16_e64 v104, v180, v104
	v_fmac_f16_e64 v188, 0x3964, v79
	v_add_f16_e64 v106, v203, v106
	v_fmac_f16_e64 v206, 0xb836, v79
	v_add_f16_e32 v107, v108, v107
	v_fma_f16 v108, v81, 0xbacd, -v214
	v_add_f16_e64 v23, v148, v56
	v_fmac_f16_e64 v146, 0x35c8, v79
	v_add_f16_e64 v16, v159, v16
	v_fmac_f16_e32 v126, 0xb1e1, v79
	v_add_f16_e32 v14, v15, v14
	v_fma_f16 v15, v81, 0xbbdd, -v97
	v_or_b32_e32 v13, v17, v13
	v_lshl_add_u32 v17, v18, 2, v32
	v_add_f16_e32 v95, v115, v95
	v_pack_b32_f16 v18, v125, v114
	v_pack_b32_f16 v20, v92, v96
	v_add_f16_e64 v100, v132, v100
	v_add_f16_e64 v102, v152, v102
	v_add_f16_e32 v19, v25, v21
	v_pack_b32_f16 v21, v90, v89
	v_pack_b32_f16 v22, v99, v91
	v_add_f16_e64 v104, v188, v104
	v_add_f16_e64 v106, v206, v106
	v_add_f16_e32 v58, v108, v107
	v_pack_b32_f16 v24, v86, v85
	v_pack_b32_f16 v25, v88, v87
	v_add_f16_e64 v23, v146, v23
	v_add_f16_e32 v16, v126, v16
	v_add_f16_e32 v14, v15, v14
	ds_store_b32 v17, v13
	ds_store_2addr_b32 v17, v20, v18 offset0:1 offset1:2
	ds_store_2addr_b32 v17, v22, v21 offset0:3 offset1:4
	;; [unrolled: 1-line block ×3, first 2 shown]
	v_pack_b32_f16 v13, v82, v77
	v_pack_b32_f16 v15, v84, v83
	;; [unrolled: 1-line block ×10, first 2 shown]
	ds_store_2addr_b32 v17, v15, v13 offset0:7 offset1:8
	ds_store_2addr_b32 v17, v20, v18 offset0:9 offset1:10
	;; [unrolled: 1-line block ×5, first 2 shown]
.LBB0_13:
	s_wait_alu 0xfffe
	s_or_b32 exec_lo, exec_lo, s0
	global_wb scope:SCOPE_SE
	s_wait_dscnt 0x0
	s_barrier_signal -1
	s_barrier_wait -1
	global_inv scope:SCOPE_SE
	ds_load_2addr_b32 v[13:14], v47 offset1:17
	ds_load_2addr_b32 v[15:16], v47 offset0:34 offset1:51
	ds_load_2addr_b32 v[17:18], v47 offset0:68 offset1:85
	;; [unrolled: 1-line block ×5, first 2 shown]
	ds_load_b32 v25, v47 offset:816
	s_wait_dscnt 0x6
	v_lshrrev_b32_e32 v26, 16, v14
	s_wait_dscnt 0x5
	v_lshrrev_b32_e32 v27, 16, v15
	v_lshrrev_b32_e32 v28, 16, v16
	s_wait_dscnt 0x4
	v_lshrrev_b32_e32 v32, 16, v17
	v_mul_f16_e32 v54, v50, v14
	v_mul_f16_e32 v55, v51, v15
	;; [unrolled: 1-line block ×4, first 2 shown]
	v_lshrrev_b32_e32 v34, 16, v18
	v_mul_f16_e32 v56, v49, v16
	v_mul_f16_e32 v49, v49, v28
	v_fma_f16 v26, v8, v26, -v54
	v_fmac_f16_e32 v50, v8, v14
	v_fmac_f16_e32 v51, v9, v15
	v_fma_f16 v14, v9, v27, -v55
	v_mul_f16_e32 v15, v48, v32
	v_mul_f16_e32 v8, v48, v17
	v_lshrrev_b32_e32 v27, 16, v13
	s_wait_dscnt 0x3
	v_lshrrev_b32_e32 v35, 16, v19
	v_fmac_f16_e32 v49, v10, v16
	v_fma_f16 v16, v10, v28, -v56
	v_mul_f16_e32 v9, v46, v34
	v_fmac_f16_e32 v15, v11, v17
	v_mul_f16_e32 v10, v46, v18
	v_fma_f16 v11, v11, v32, -v8
	v_add_f16_e32 v8, v26, v27
	v_add_f16_e32 v17, v50, v13
	v_fmac_f16_e32 v9, v4, v18
	v_fma_f16 v10, v4, v34, -v10
	v_mul_f16_e32 v4, v45, v35
	v_mul_f16_e32 v18, v45, v19
	v_add_f16_e32 v28, v8, v14
	v_add_f16_e32 v17, v17, v51
	v_lshrrev_b32_e32 v36, 16, v20
	v_fmac_f16_e32 v4, v5, v19
	v_fma_f16 v5, v5, v35, -v18
	v_add_f16_e32 v18, v28, v16
	v_add_f16_e32 v17, v17, v49
	s_wait_dscnt 0x2
	v_lshrrev_b32_e32 v37, 16, v21
	v_mul_f16_e32 v8, v44, v36
	v_lshrrev_b32_e32 v38, 16, v22
	v_add_f16_e32 v18, v18, v11
	v_add_f16_e32 v17, v17, v15
	v_mul_f16_e32 v19, v44, v20
	v_fmac_f16_e32 v8, v6, v20
	v_mul_f16_e32 v20, v43, v37
	v_add_f16_e32 v18, v18, v10
	v_add_f16_e32 v17, v17, v9
	v_mul_f16_e32 v28, v43, v21
	v_fma_f16 v6, v6, v36, -v19
	v_fmac_f16_e32 v20, v7, v21
	v_mul_f16_e32 v19, v42, v38
	v_mul_f16_e32 v21, v42, v22
	v_add_f16_e32 v18, v18, v5
	v_add_f16_e32 v17, v17, v4
	s_wait_dscnt 0x1
	v_lshrrev_b32_e32 v47, 16, v23
	v_fma_f16 v7, v7, v37, -v28
	v_fmac_f16_e32 v19, v0, v22
	v_fma_f16 v21, v0, v38, -v21
	v_add_f16_e32 v0, v18, v6
	v_add_f16_e32 v17, v17, v8
	v_lshrrev_b32_e32 v52, 16, v24
	v_mul_f16_e32 v28, v41, v47
	v_mul_f16_e32 v18, v41, v23
	v_add_f16_e32 v0, v0, v7
	v_add_f16_e32 v17, v17, v20
	s_wait_dscnt 0x0
	v_lshrrev_b32_e32 v53, 16, v25
	v_fmac_f16_e32 v28, v1, v23
	v_mul_f16_e32 v22, v40, v52
	v_mul_f16_e32 v23, v40, v24
	v_fma_f16 v1, v1, v47, -v18
	v_add_f16_e32 v0, v0, v21
	v_add_f16_e32 v17, v17, v19
	v_mul_f16_e32 v18, v39, v25
	v_fmac_f16_e32 v22, v2, v24
	v_fma_f16 v2, v2, v52, -v23
	v_mul_f16_e32 v23, v39, v53
	v_add_f16_e32 v0, v0, v1
	v_add_f16_e32 v17, v17, v28
	v_fma_f16 v18, v3, v53, -v18
	v_sub_f16_e32 v53, v14, v2
	v_fmac_f16_e32 v23, v3, v25
	v_add_f16_e32 v0, v0, v2
	v_add_f16_e32 v3, v17, v22
	v_sub_f16_e32 v17, v26, v18
	v_add_f16_e32 v55, v51, v22
	v_add_f16_e32 v24, v50, v23
	;; [unrolled: 1-line block ×4, first 2 shown]
	v_mul_f16_e32 v25, 0xb770, v17
	v_add_f16_e32 v18, v26, v18
	v_sub_f16_e32 v23, v50, v23
	v_lshlrev_b32_e32 v0, 16, v0
	v_and_b32_e32 v3, 0xffff, v3
	v_fmamk_f16 v26, v24, 0x3b15, v25
	v_mul_f16_e32 v32, 0x3b15, v18
	v_mul_f16_e32 v34, 0xba95, v17
	;; [unrolled: 1-line block ×12, first 2 shown]
	v_add_f16_e32 v2, v14, v2
	v_or_b32_e32 v0, v0, v3
	v_add_f16_e32 v3, v26, v13
	v_fmamk_f16 v26, v23, 0x3770, v32
	v_fma_f16 v25, v24, 0x3b15, -v25
	v_fmac_f16_e32 v32, 0xb770, v23
	v_fmamk_f16 v36, v24, 0x388b, v34
	v_fmamk_f16 v37, v23, 0x3a95, v35
	v_fma_f16 v34, v24, 0x388b, -v34
	v_fmac_f16_e32 v35, 0xba95, v23
	v_fmamk_f16 v39, v24, 0x2fb7, v38
	;; [unrolled: 4-line block ×5, first 2 shown]
	v_fmamk_f16 v54, v23, 0x33a8, v18
	v_fma_f16 v14, v24, 0xbbc4, -v17
	v_fmac_f16_e32 v18, 0xb3a8, v23
	v_sub_f16_e32 v17, v51, v22
	v_fmamk_f16 v22, v55, 0x388b, v56
	v_mul_f16_e32 v23, 0x388b, v2
	v_add_f16_e32 v26, v26, v27
	v_add_f16_e32 v25, v25, v13
	;; [unrolled: 1-line block ×24, first 2 shown]
	v_fmamk_f16 v18, v17, 0x3a95, v23
	v_mul_f16_e32 v22, 0xbb7b, v53
	v_fma_f16 v27, v55, 0x388b, -v56
	v_fmac_f16_e32 v23, 0xba95, v17
	v_mul_f16_e32 v51, 0xb5ac, v2
	v_add_f16_e32 v18, v18, v26
	v_fmamk_f16 v26, v55, 0xb5ac, v22
	v_add_f16_e32 v25, v27, v25
	v_add_f16_e32 v23, v23, v32
	v_fmamk_f16 v27, v17, 0x3b7b, v51
	v_mul_f16_e32 v32, 0xb3a8, v53
	v_add_f16_e32 v26, v26, v36
	v_fma_f16 v22, v55, 0xb5ac, -v22
	v_fmac_f16_e32 v51, 0xbb7b, v17
	v_add_f16_e32 v27, v27, v37
	v_fmamk_f16 v36, v55, 0xbbc4, v32
	v_mul_f16_e32 v37, 0xbbc4, v2
	v_add_f16_e32 v22, v22, v34
	v_add_f16_e32 v34, v51, v35
	v_mul_f16_e32 v35, 0x394e, v53
	v_add_f16_e32 v36, v36, v39
	v_fmamk_f16 v39, v17, 0x33a8, v37
	v_fmac_f16_e32 v37, 0xb3a8, v17
	v_mul_f16_e32 v54, 0xb9fd, v2
	v_fma_f16 v32, v55, 0xbbc4, -v32
	v_fmamk_f16 v51, v55, 0xb9fd, v35
	v_add_f16_e32 v39, v39, v42
	v_add_f16_e32 v37, v37, v40
	v_fmamk_f16 v40, v17, 0xb94e, v54
	v_mul_f16_e32 v42, 0x3bf1, v53
	v_add_f16_e32 v32, v32, v38
	v_add_f16_e32 v38, v51, v43
	v_fma_f16 v35, v55, 0xb9fd, -v35
	v_mul_f16_e32 v43, 0x2fb7, v2
	v_add_f16_e32 v40, v40, v45
	v_fmamk_f16 v45, v55, 0x2fb7, v42
	v_mul_f16_e32 v51, 0x3770, v53
	v_fma_f16 v42, v55, 0x2fb7, -v42
	v_add_f16_e32 v35, v35, v41
	v_fmamk_f16 v41, v17, 0xbbf1, v43
	v_add_f16_e32 v45, v45, v48
	v_fmac_f16_e32 v43, 0x3bf1, v17
	v_fmamk_f16 v48, v55, 0x3b15, v51
	v_add_f16_e32 v42, v42, v46
	v_sub_f16_e32 v46, v16, v1
	v_add_f16_e32 v41, v41, v50
	v_mul_f16_e32 v2, 0x3b15, v2
	v_add_f16_e32 v43, v43, v47
	v_add_f16_e32 v47, v48, v52
	;; [unrolled: 1-line block ×3, first 2 shown]
	v_mul_f16_e32 v52, 0xbbf1, v46
	v_add_f16_e32 v1, v16, v1
	v_fmac_f16_e32 v54, 0x394e, v17
	v_fmamk_f16 v48, v17, 0xb770, v2
	v_fma_f16 v16, v55, 0x3b15, -v51
	v_fmac_f16_e32 v2, 0x3770, v17
	v_sub_f16_e32 v17, v49, v28
	v_fmamk_f16 v28, v50, 0x2fb7, v52
	v_mul_f16_e32 v49, 0x2fb7, v1
	v_add_f16_e32 v24, v48, v24
	v_add_f16_e32 v13, v16, v13
	;; [unrolled: 1-line block ×4, first 2 shown]
	v_fmamk_f16 v14, v17, 0x3bf1, v49
	v_mul_f16_e32 v16, 0xb3a8, v46
	v_fma_f16 v28, v50, 0x2fb7, -v52
	v_fmac_f16_e32 v49, 0xbbf1, v17
	v_mul_f16_e32 v48, 0xbbc4, v1
	v_add_f16_e32 v14, v14, v18
	v_fmamk_f16 v18, v50, 0xbbc4, v16
	v_add_f16_e32 v25, v28, v25
	v_add_f16_e32 v23, v49, v23
	v_fmamk_f16 v28, v17, 0x33a8, v48
	v_mul_f16_e32 v49, 0x3b7b, v46
	v_fma_f16 v16, v50, 0xbbc4, -v16
	v_fmac_f16_e32 v48, 0xb3a8, v17
	v_add_f16_e32 v18, v18, v26
	v_add_f16_e32 v26, v28, v27
	v_fmamk_f16 v27, v50, 0xb5ac, v49
	v_mul_f16_e32 v28, 0xb5ac, v1
	v_add_f16_e32 v16, v16, v22
	v_add_f16_e32 v22, v48, v34
	v_mul_f16_e32 v34, 0x3770, v46
	v_add_f16_e32 v27, v27, v36
	v_fmamk_f16 v36, v17, 0xbb7b, v28
	v_fma_f16 v48, v50, 0xb5ac, -v49
	v_fmac_f16_e32 v28, 0x3b7b, v17
	v_fmamk_f16 v49, v50, 0x3b15, v34
	v_mul_f16_e32 v51, 0x3b15, v1
	v_add_f16_e32 v36, v36, v39
	v_add_f16_e32 v32, v48, v32
	;; [unrolled: 1-line block ×4, first 2 shown]
	v_fmamk_f16 v38, v17, 0xb770, v51
	v_mul_f16_e32 v39, 0xba95, v46
	v_fma_f16 v34, v50, 0x3b15, -v34
	v_mul_f16_e32 v48, 0x388b, v1
	v_mul_f16_e32 v46, 0xb94e, v46
	v_add_f16_e32 v38, v38, v40
	v_fmamk_f16 v40, v50, 0x388b, v39
	v_add_f16_e32 v34, v34, v35
	v_fmamk_f16 v35, v17, 0x3a95, v48
	v_fma_f16 v39, v50, 0x388b, -v39
	v_fmac_f16_e32 v48, 0xba95, v17
	v_mul_f16_e32 v1, 0xb9fd, v1
	v_fmac_f16_e32 v51, 0x3770, v17
	v_add_f16_e32 v35, v35, v41
	v_fmamk_f16 v41, v50, 0xb9fd, v46
	v_add_f16_e32 v39, v39, v42
	v_sub_f16_e32 v42, v11, v21
	v_add_f16_e32 v43, v48, v43
	v_add_f16_e32 v11, v11, v21
	v_add_f16_e32 v41, v41, v47
	v_add_f16_e32 v47, v15, v19
	v_mul_f16_e32 v48, 0xbb7b, v42
	v_add_f16_e32 v40, v40, v45
	v_fmamk_f16 v45, v17, 0x394e, v1
	v_fma_f16 v21, v50, 0xb9fd, -v46
	v_fmac_f16_e32 v1, 0xb94e, v17
	v_sub_f16_e32 v15, v15, v19
	v_fmamk_f16 v17, v47, 0xb5ac, v48
	v_mul_f16_e32 v19, 0xb5ac, v11
	v_add_f16_e32 v24, v45, v24
	v_add_f16_e32 v13, v21, v13
	;; [unrolled: 1-line block ×4, first 2 shown]
	v_fmamk_f16 v3, v15, 0x3b7b, v19
	v_mul_f16_e32 v17, 0x394e, v42
	v_fma_f16 v21, v47, 0xb5ac, -v48
	v_fmac_f16_e32 v19, 0xbb7b, v15
	v_mul_f16_e32 v45, 0xb9fd, v11
	v_add_f16_e32 v3, v3, v14
	v_fmamk_f16 v14, v47, 0xb9fd, v17
	v_add_f16_e32 v21, v21, v25
	v_add_f16_e32 v19, v19, v23
	v_fmamk_f16 v23, v15, 0xb94e, v45
	v_mul_f16_e32 v25, 0x3770, v42
	v_add_f16_e32 v14, v14, v18
	v_fma_f16 v17, v47, 0xb9fd, -v17
	v_fmac_f16_e32 v45, 0x394e, v15
	v_add_f16_e32 v18, v23, v26
	v_fmamk_f16 v23, v47, 0x3b15, v25
	v_mul_f16_e32 v26, 0x3b15, v11
	v_add_f16_e32 v16, v17, v16
	v_add_f16_e32 v17, v45, v22
	v_mul_f16_e32 v22, 0xbbf1, v42
	v_add_f16_e32 v23, v23, v27
	v_fmamk_f16 v27, v15, 0xb770, v26
	v_fma_f16 v25, v47, 0x3b15, -v25
	v_mul_f16_e32 v46, 0x2fb7, v11
	v_add_f16_e32 v44, v54, v44
	v_fmac_f16_e32 v26, 0x3770, v15
	v_fmamk_f16 v45, v47, 0x2fb7, v22
	v_add_f16_e32 v27, v27, v36
	v_add_f16_e32 v25, v25, v32
	v_fmamk_f16 v32, v15, 0x3bf1, v46
	v_mul_f16_e32 v36, 0x33a8, v42
	v_add_f16_e32 v44, v51, v44
	v_add_f16_e32 v26, v26, v28
	v_add_f16_e32 v28, v45, v37
	v_fma_f16 v22, v47, 0x2fb7, -v22
	v_fmac_f16_e32 v46, 0xbbf1, v15
	v_mul_f16_e32 v37, 0xbbc4, v11
	v_add_f16_e32 v32, v32, v38
	v_fmamk_f16 v38, v47, 0xbbc4, v36
	v_mul_f16_e32 v42, 0x3a95, v42
	v_fma_f16 v36, v47, 0xbbc4, -v36
	v_add_f16_e32 v22, v22, v34
	v_add_f16_e32 v34, v46, v44
	v_fmamk_f16 v44, v15, 0xb3a8, v37
	v_add_f16_e32 v38, v38, v40
	v_fmac_f16_e32 v37, 0x33a8, v15
	v_fmamk_f16 v40, v47, 0x388b, v42
	v_mul_f16_e32 v11, 0x388b, v11
	v_add_f16_e32 v36, v36, v39
	v_sub_f16_e32 v39, v10, v7
	v_add_f16_e32 v7, v10, v7
	v_add_f16_e32 v37, v37, v43
	;; [unrolled: 1-line block ×3, first 2 shown]
	v_fmamk_f16 v41, v15, 0xba95, v11
	v_add_f16_e32 v43, v9, v20
	v_mul_f16_e32 v10, 0xb94e, v39
	v_fmac_f16_e32 v11, 0x3a95, v15
	v_sub_f16_e32 v9, v9, v20
	v_mul_f16_e32 v15, 0xb9fd, v7
	v_add_f16_e32 v24, v41, v24
	v_fmamk_f16 v20, v43, 0xb9fd, v10
	v_add_f16_e32 v1, v11, v1
	v_fma_f16 v10, v43, 0xb9fd, -v10
	v_fmamk_f16 v11, v9, 0x394e, v15
	v_fmac_f16_e32 v15, 0xb94e, v9
	v_add_f16_e32 v2, v20, v2
	v_mul_f16_e32 v20, 0x3bf1, v39
	v_add_f16_e32 v10, v10, v21
	v_add_f16_e32 v3, v11, v3
	v_mul_f16_e32 v11, 0x2fb7, v7
	v_add_f16_e32 v15, v15, v19
	v_fmamk_f16 v41, v43, 0x2fb7, v20
	v_mul_f16_e32 v19, 0xba95, v39
	v_fma_f16 v20, v43, 0x2fb7, -v20
	v_fmamk_f16 v21, v9, 0xbbf1, v11
	v_fma_f16 v42, v47, 0x388b, -v42
	v_add_f16_e32 v14, v41, v14
	v_fmac_f16_e32 v11, 0x3bf1, v9
	v_fmamk_f16 v41, v43, 0x388b, v19
	v_add_f16_e32 v18, v21, v18
	v_mul_f16_e32 v21, 0x388b, v7
	v_add_f16_e32 v16, v20, v16
	v_mul_f16_e32 v20, 0x33a8, v39
	v_add_f16_e32 v13, v42, v13
	v_add_f16_e32 v11, v11, v17
	v_add_f16_e32 v17, v41, v23
	v_fmamk_f16 v23, v9, 0x3a95, v21
	v_fma_f16 v19, v43, 0x388b, -v19
	v_fmac_f16_e32 v21, 0xba95, v9
	v_mul_f16_e32 v41, 0xbbc4, v7
	v_fmamk_f16 v42, v43, 0xbbc4, v20
	v_add_f16_e32 v23, v23, v27
	v_add_f16_e32 v19, v19, v25
	;; [unrolled: 1-line block ×3, first 2 shown]
	v_fmamk_f16 v25, v9, 0xb3a8, v41
	v_add_f16_e32 v26, v42, v28
	v_mul_f16_e32 v27, 0x3770, v39
	v_fma_f16 v20, v43, 0xbbc4, -v20
	v_fmac_f16_e32 v41, 0x33a8, v9
	v_mul_f16_e32 v28, 0x3b15, v7
	v_add_f16_e32 v25, v25, v32
	v_fmamk_f16 v32, v43, 0x3b15, v27
	v_add_f16_e32 v20, v20, v22
	v_add_f16_e32 v22, v41, v34
	v_mul_f16_e32 v34, 0xbb7b, v39
	v_fmamk_f16 v39, v9, 0xb770, v28
	v_fmac_f16_e32 v28, 0x3770, v9
	v_add_f16_e32 v35, v44, v35
	v_add_f16_e32 v32, v32, v38
	v_fma_f16 v27, v43, 0x3b15, -v27
	v_fmamk_f16 v38, v43, 0xb5ac, v34
	v_mul_f16_e32 v7, 0xb5ac, v7
	v_add_f16_e32 v28, v28, v37
	v_sub_f16_e32 v37, v5, v6
	v_add_f16_e32 v5, v5, v6
	v_add_f16_e32 v35, v39, v35
	;; [unrolled: 1-line block ×4, first 2 shown]
	v_fmamk_f16 v38, v9, 0x3b7b, v7
	v_fma_f16 v34, v43, 0xb5ac, -v34
	v_add_f16_e32 v6, v4, v8
	v_mul_f16_e32 v39, 0xb3a8, v37
	v_fmac_f16_e32 v7, 0xbb7b, v9
	v_sub_f16_e32 v4, v4, v8
	v_mul_f16_e32 v8, 0xbbc4, v5
	v_add_f16_e32 v9, v38, v24
	v_fmamk_f16 v24, v6, 0xbbc4, v39
	v_add_f16_e32 v13, v34, v13
	v_add_f16_e32 v1, v7, v1
	v_fmamk_f16 v7, v4, 0x33a8, v8
	v_mul_f16_e32 v34, 0x3770, v37
	v_fmac_f16_e32 v8, 0xb3a8, v4
	v_add_f16_e32 v2, v24, v2
	v_fma_f16 v24, v6, 0xbbc4, -v39
	v_add_f16_e32 v3, v7, v3
	v_fmamk_f16 v7, v6, 0x3b15, v34
	v_mul_f16_e32 v38, 0x3b15, v5
	v_add_f16_e32 v8, v8, v15
	v_mul_f16_e32 v15, 0xb94e, v37
	v_add_f16_e32 v10, v24, v10
	v_add_f16_e32 v7, v7, v14
	v_fmamk_f16 v14, v4, 0xb770, v38
	v_fma_f16 v24, v6, 0x3b15, -v34
	v_fmamk_f16 v34, v6, 0xb9fd, v15
	v_mul_f16_e32 v39, 0xb9fd, v5
	v_fmac_f16_e32 v38, 0x3770, v4
	v_add_f16_e32 v14, v14, v18
	v_add_f16_e32 v16, v24, v16
	;; [unrolled: 1-line block ×3, first 2 shown]
	v_fmamk_f16 v18, v4, 0x394e, v39
	v_mul_f16_e32 v24, 0x3a95, v37
	v_fma_f16 v15, v6, 0xb9fd, -v15
	v_fmac_f16_e32 v39, 0xb94e, v4
	v_mul_f16_e32 v34, 0x388b, v5
	v_add_f16_e32 v11, v38, v11
	v_add_f16_e32 v18, v18, v23
	v_fmamk_f16 v23, v6, 0x388b, v24
	v_add_f16_e32 v15, v15, v19
	v_add_f16_e32 v19, v39, v21
	v_fmamk_f16 v21, v4, 0xba95, v34
	v_mul_f16_e32 v38, 0xbb7b, v37
	v_fma_f16 v24, v6, 0x388b, -v24
	v_fmac_f16_e32 v34, 0x3a95, v4
	v_add_f16_e32 v23, v23, v26
	v_add_f16_e32 v21, v21, v25
	v_fmamk_f16 v25, v6, 0xb5ac, v38
	v_mul_f16_e32 v26, 0xb5ac, v5
	v_add_f16_e32 v20, v24, v20
	v_add_f16_e32 v22, v34, v22
	v_mul_f16_e32 v24, 0x3bf1, v37
	v_fma_f16 v34, v6, 0xb5ac, -v38
	v_mul_f16_e32 v5, 0x2fb7, v5
	v_add_f16_e32 v25, v25, v32
	v_fmamk_f16 v32, v4, 0x3b7b, v26
	v_fmac_f16_e32 v26, 0xbb7b, v4
	v_fmamk_f16 v37, v6, 0x2fb7, v24
	v_add_f16_e32 v27, v34, v27
	v_fmamk_f16 v34, v4, 0xbbf1, v5
	v_fma_f16 v6, v6, 0x2fb7, -v24
	v_fmac_f16_e32 v5, 0x3bf1, v4
	v_add_f16_e32 v32, v32, v35
	v_pack_b32_f16 v2, v2, v3
	v_add_f16_e32 v26, v26, v28
	v_add_f16_e32 v28, v37, v36
	v_pack_b32_f16 v3, v7, v14
	v_pack_b32_f16 v4, v17, v18
	v_add_f16_e32 v7, v34, v9
	v_add_f16_e32 v6, v6, v13
	;; [unrolled: 1-line block ×3, first 2 shown]
	ds_store_2addr_b32 v33, v0, v2 offset1:17
	ds_store_2addr_b32 v33, v3, v4 offset0:34 offset1:51
	v_pack_b32_f16 v0, v23, v21
	v_pack_b32_f16 v2, v25, v32
	v_pack_b32_f16 v3, v28, v7
	v_pack_b32_f16 v1, v6, v1
	v_pack_b32_f16 v4, v27, v26
	v_pack_b32_f16 v5, v20, v22
	v_pack_b32_f16 v6, v15, v19
	v_pack_b32_f16 v7, v16, v11
	v_pack_b32_f16 v8, v10, v8
	ds_store_2addr_b32 v33, v0, v2 offset0:68 offset1:85
	ds_store_2addr_b32 v33, v3, v1 offset0:102 offset1:119
	;; [unrolled: 1-line block ×4, first 2 shown]
	ds_store_b32 v33, v8 offset:816
	global_wb scope:SCOPE_SE
	s_wait_dscnt 0x0
	s_barrier_signal -1
	s_barrier_wait -1
	global_inv scope:SCOPE_SE
	s_and_b32 exec_lo, exec_lo, vcc_lo
	s_cbranch_execz .LBB0_15
; %bb.14:
	global_load_b32 v0, v30, s[12:13]
	ds_load_b32 v1, v33
	s_mov_b32 s8, 0x1288b013
	s_mov_b32 s9, 0x3f7288b0
	v_mad_co_u64_u32 v[6:7], null, s4, v31, 0
	s_wait_dscnt 0x0
	v_lshrrev_b32_e32 v2, 16, v1
	s_wait_loadcnt 0x0
	v_lshrrev_b32_e32 v3, 16, v0
	s_delay_alu instid0(VALU_DEP_1) | instskip(SKIP_1) | instid1(VALU_DEP_2)
	v_mul_f16_e32 v4, v2, v3
	v_mul_f16_e32 v3, v1, v3
	v_fmac_f16_e32 v4, v1, v0
	s_delay_alu instid0(VALU_DEP_2) | instskip(NEXT) | instid1(VALU_DEP_2)
	v_fma_f16 v0, v0, v2, -v3
	v_cvt_f32_f16_e32 v1, v4
	s_delay_alu instid0(VALU_DEP_2) | instskip(SKIP_1) | instid1(VALU_DEP_3)
	v_cvt_f32_f16_e32 v2, v0
	v_mad_co_u64_u32 v[4:5], null, s6, v12, 0
	v_cvt_f64_f32_e32 v[0:1], v1
	s_delay_alu instid0(VALU_DEP_3) | instskip(SKIP_1) | instid1(VALU_DEP_2)
	v_cvt_f64_f32_e32 v[2:3], v2
	s_wait_alu 0xfffe
	v_mul_f64_e32 v[0:1], s[8:9], v[0:1]
	s_delay_alu instid0(VALU_DEP_2) | instskip(NEXT) | instid1(VALU_DEP_2)
	v_mul_f64_e32 v[2:3], s[8:9], v[2:3]
	v_and_or_b32 v0, 0x1ff, v1, v0
	s_delay_alu instid0(VALU_DEP_2)
	v_and_or_b32 v2, 0x1ff, v3, v2
	v_lshrrev_b32_e32 v8, 8, v1
	v_bfe_u32 v10, v1, 20, 11
	v_bfe_u32 v11, v3, 20, 11
	v_cmp_ne_u32_e32 vcc_lo, 0, v0
	v_lshrrev_b32_e32 v9, 8, v3
	v_mov_b32_e32 v0, v7
	v_sub_nc_u32_e32 v14, 0x3f1, v10
	v_sub_nc_u32_e32 v15, 0x3f1, v11
	v_cndmask_b32_e64 v13, 0, 1, vcc_lo
	v_cmp_ne_u32_e32 vcc_lo, 0, v2
	v_add_nc_u32_e32 v10, 0xfffffc10, v10
	v_lshrrev_b32_e32 v3, 16, v3
	s_delay_alu instid0(VALU_DEP_4)
	v_and_or_b32 v13, 0xffe, v8, v13
	s_wait_alu 0xfffd
	v_cndmask_b32_e64 v2, 0, 1, vcc_lo
	v_mad_co_u64_u32 v[7:8], null, s7, v12, v[5:6]
	v_med3_i32 v12, v14, 0, 13
	v_med3_i32 v14, v15, 0, 13
	s_delay_alu instid0(VALU_DEP_4) | instskip(SKIP_3) | instid1(VALU_DEP_3)
	v_and_or_b32 v2, 0xffe, v9, v2
	v_or_b32_e32 v15, 0x1000, v13
	s_mul_u64 s[6:7], s[4:5], 52
	v_mov_b32_e32 v5, v7
	v_or_b32_e32 v16, 0x1000, v2
	v_mad_co_u64_u32 v[8:9], null, s5, v31, v[0:1]
	v_lshrrev_b32_e32 v0, v12, v15
	v_lshrrev_b32_e32 v1, 16, v1
	s_delay_alu instid0(VALU_DEP_4) | instskip(SKIP_1) | instid1(VALU_DEP_4)
	v_lshrrev_b32_e32 v9, v14, v16
	v_lshlrev_b64_e32 v[4:5], 2, v[4:5]
	v_lshlrev_b32_e32 v12, v12, v0
	s_delay_alu instid0(VALU_DEP_3) | instskip(SKIP_1) | instid1(VALU_DEP_3)
	v_dual_mov_b32 v7, v8 :: v_dual_lshlrev_b32 v8, v14, v9
	v_lshl_or_b32 v14, v10, 12, v13
	v_cmp_ne_u32_e32 vcc_lo, v12, v15
	s_delay_alu instid0(VALU_DEP_3) | instskip(SKIP_3) | instid1(VALU_DEP_2)
	v_lshlrev_b64_e32 v[6:7], 2, v[6:7]
	s_wait_alu 0xfffd
	v_cndmask_b32_e64 v12, 0, 1, vcc_lo
	v_cmp_ne_u32_e32 vcc_lo, v8, v16
	v_or_b32_e32 v0, v0, v12
	s_wait_alu 0xfffd
	v_cndmask_b32_e64 v8, 0, 1, vcc_lo
	v_cmp_gt_i32_e32 vcc_lo, 1, v10
	v_add_nc_u32_e32 v11, 0xfffffc10, v11
	s_delay_alu instid0(VALU_DEP_3) | instskip(SKIP_2) | instid1(VALU_DEP_3)
	v_or_b32_e32 v8, v9, v8
	s_wait_alu 0xfffd
	v_cndmask_b32_e32 v0, v14, v0, vcc_lo
	v_lshl_or_b32 v12, v11, 12, v2
	v_cmp_gt_i32_e32 vcc_lo, 1, v11
	s_wait_alu 0xfffd
	s_delay_alu instid0(VALU_DEP_2)
	v_cndmask_b32_e32 v8, v12, v8, vcc_lo
	v_cmp_ne_u32_e32 vcc_lo, 0, v13
	v_and_b32_e32 v12, 7, v0
	v_lshrrev_b32_e32 v0, 2, v0
	s_wait_alu 0xfffd
	v_cndmask_b32_e64 v9, 0, 1, vcc_lo
	v_cmp_ne_u32_e32 vcc_lo, 0, v2
	v_cmp_eq_u32_e64 s0, 3, v12
	s_delay_alu instid0(VALU_DEP_3)
	v_lshl_or_b32 v9, v9, 9, 0x7c00
	v_and_b32_e32 v13, 7, v8
	s_wait_alu 0xfffd
	v_cndmask_b32_e64 v2, 0, 1, vcc_lo
	v_cmp_lt_i32_e32 vcc_lo, 5, v12
	v_lshrrev_b32_e32 v8, 2, v8
	v_cmp_lt_i32_e64 s1, 5, v13
	v_cmp_eq_u32_e64 s2, 3, v13
	s_or_b32 vcc_lo, s0, vcc_lo
	v_lshl_or_b32 v2, v2, 9, 0x7c00
	s_wait_alu 0xfffe
	v_add_co_ci_u32_e32 v0, vcc_lo, 0, v0, vcc_lo
	s_or_b32 vcc_lo, s2, s1
	s_wait_alu 0xfffe
	v_add_co_ci_u32_e32 v8, vcc_lo, 0, v8, vcc_lo
	v_cmp_gt_i32_e32 vcc_lo, 31, v10
	s_wait_alu 0xfffd
	v_cndmask_b32_e32 v0, 0x7c00, v0, vcc_lo
	v_cmp_gt_i32_e32 vcc_lo, 31, v11
	s_wait_alu 0xfffd
	v_cndmask_b32_e32 v8, 0x7c00, v8, vcc_lo
	v_cmp_eq_u32_e32 vcc_lo, 0x40f, v10
	s_wait_alu 0xfffd
	v_cndmask_b32_e32 v0, v0, v9, vcc_lo
	v_cmp_eq_u32_e32 vcc_lo, 0x40f, v11
	s_wait_alu 0xfffd
	v_cndmask_b32_e32 v2, v8, v2, vcc_lo
	s_delay_alu instid0(VALU_DEP_3) | instskip(SKIP_3) | instid1(VALU_DEP_3)
	v_and_or_b32 v8, 0x8000, v1, v0
	v_add_co_u32 v0, vcc_lo, s14, v4
	s_wait_alu 0xfffd
	v_add_co_ci_u32_e32 v1, vcc_lo, s15, v5, vcc_lo
	v_and_b32_e32 v5, 0xffff, v8
	v_and_or_b32 v4, 0x8000, v3, v2
	v_add_co_u32 v2, vcc_lo, v0, v6
	s_wait_alu 0xfffd
	v_add_co_ci_u32_e32 v3, vcc_lo, v1, v7, vcc_lo
	s_delay_alu instid0(VALU_DEP_3)
	v_lshl_or_b32 v4, v4, 16, v5
	global_store_b32 v[2:3], v4, off
	global_load_b32 v6, v30, s[12:13] offset:52
	ds_load_2addr_b32 v[4:5], v33 offset0:13 offset1:26
	s_wait_dscnt 0x0
	v_lshrrev_b32_e32 v7, 16, v4
	s_wait_loadcnt 0x0
	v_lshrrev_b32_e32 v8, 16, v6
	s_delay_alu instid0(VALU_DEP_1) | instskip(SKIP_1) | instid1(VALU_DEP_2)
	v_mul_f16_e32 v9, v7, v8
	v_mul_f16_e32 v8, v4, v8
	v_fmac_f16_e32 v9, v4, v6
	s_delay_alu instid0(VALU_DEP_2) | instskip(NEXT) | instid1(VALU_DEP_2)
	v_fma_f16 v4, v6, v7, -v8
	v_cvt_f32_f16_e32 v6, v9
	s_delay_alu instid0(VALU_DEP_2) | instskip(NEXT) | instid1(VALU_DEP_2)
	v_cvt_f32_f16_e32 v4, v4
	v_cvt_f64_f32_e32 v[6:7], v6
	s_delay_alu instid0(VALU_DEP_2) | instskip(NEXT) | instid1(VALU_DEP_2)
	v_cvt_f64_f32_e32 v[8:9], v4
	v_mul_f64_e32 v[6:7], s[8:9], v[6:7]
	s_delay_alu instid0(VALU_DEP_2) | instskip(NEXT) | instid1(VALU_DEP_2)
	v_mul_f64_e32 v[8:9], s[8:9], v[8:9]
	v_and_or_b32 v4, 0x1ff, v7, v6
	s_delay_alu instid0(VALU_DEP_2)
	v_and_or_b32 v8, 0x1ff, v9, v8
	v_lshrrev_b32_e32 v6, 8, v7
	v_bfe_u32 v10, v7, 20, 11
	v_lshrrev_b32_e32 v11, 8, v9
	v_cmp_ne_u32_e32 vcc_lo, 0, v4
	v_bfe_u32 v12, v9, 20, 11
	v_lshrrev_b32_e32 v7, 16, v7
	v_sub_nc_u32_e32 v13, 0x3f1, v10
	v_add_nc_u32_e32 v10, 0xfffffc10, v10
	s_wait_alu 0xfffd
	v_cndmask_b32_e64 v4, 0, 1, vcc_lo
	v_cmp_ne_u32_e32 vcc_lo, 0, v8
	v_lshrrev_b32_e32 v9, 16, v9
	s_delay_alu instid0(VALU_DEP_3) | instskip(SKIP_4) | instid1(VALU_DEP_3)
	v_and_or_b32 v4, 0xffe, v6, v4
	s_wait_alu 0xfffd
	v_cndmask_b32_e64 v8, 0, 1, vcc_lo
	v_sub_nc_u32_e32 v6, 0x3f1, v12
	v_add_nc_u32_e32 v12, 0xfffffc10, v12
	v_and_or_b32 v8, 0xffe, v11, v8
	v_med3_i32 v11, v13, 0, 13
	v_or_b32_e32 v13, 0x1000, v4
	v_med3_i32 v6, v6, 0, 13
	s_delay_alu instid0(VALU_DEP_4) | instskip(NEXT) | instid1(VALU_DEP_3)
	v_or_b32_e32 v14, 0x1000, v8
	v_lshrrev_b32_e32 v15, v11, v13
	s_delay_alu instid0(VALU_DEP_2) | instskip(NEXT) | instid1(VALU_DEP_2)
	v_lshrrev_b32_e32 v16, v6, v14
	v_lshlrev_b32_e32 v11, v11, v15
	s_delay_alu instid0(VALU_DEP_2) | instskip(NEXT) | instid1(VALU_DEP_2)
	v_lshlrev_b32_e32 v6, v6, v16
	v_cmp_ne_u32_e32 vcc_lo, v11, v13
	v_lshl_or_b32 v13, v10, 12, v4
	s_wait_alu 0xfffd
	v_cndmask_b32_e64 v11, 0, 1, vcc_lo
	v_cmp_ne_u32_e32 vcc_lo, v6, v14
	v_lshl_or_b32 v14, v12, 12, v8
	s_delay_alu instid0(VALU_DEP_3) | instskip(SKIP_3) | instid1(VALU_DEP_2)
	v_or_b32_e32 v11, v15, v11
	s_wait_alu 0xfffd
	v_cndmask_b32_e64 v6, 0, 1, vcc_lo
	v_cmp_gt_i32_e32 vcc_lo, 1, v10
	v_or_b32_e32 v6, v16, v6
	s_wait_alu 0xfffd
	v_cndmask_b32_e32 v11, v13, v11, vcc_lo
	v_cmp_gt_i32_e32 vcc_lo, 1, v12
	s_wait_alu 0xfffd
	s_delay_alu instid0(VALU_DEP_2) | instskip(SKIP_2) | instid1(VALU_DEP_3)
	v_dual_cndmask_b32 v6, v14, v6 :: v_dual_and_b32 v13, 7, v11
	v_cmp_ne_u32_e32 vcc_lo, 0, v4
	v_lshrrev_b32_e32 v11, 2, v11
	v_cmp_eq_u32_e64 s0, 3, v13
	s_delay_alu instid0(VALU_DEP_4)
	v_and_b32_e32 v14, 7, v6
	s_wait_alu 0xfffd
	v_cndmask_b32_e64 v4, 0, 1, vcc_lo
	v_cmp_ne_u32_e32 vcc_lo, 0, v8
	v_lshrrev_b32_e32 v6, 2, v6
	v_cmp_lt_i32_e64 s1, 5, v14
	v_cmp_eq_u32_e64 s2, 3, v14
	s_wait_alu 0xfffd
	v_cndmask_b32_e64 v8, 0, 1, vcc_lo
	v_cmp_lt_i32_e32 vcc_lo, 5, v13
	v_lshl_or_b32 v4, v4, 9, 0x7c00
	s_delay_alu instid0(VALU_DEP_3)
	v_lshl_or_b32 v8, v8, 9, 0x7c00
	s_or_b32 vcc_lo, s0, vcc_lo
	s_wait_alu 0xfffe
	v_add_co_ci_u32_e32 v11, vcc_lo, 0, v11, vcc_lo
	s_or_b32 vcc_lo, s2, s1
	s_wait_alu 0xfffe
	v_add_co_ci_u32_e32 v6, vcc_lo, 0, v6, vcc_lo
	v_cmp_gt_i32_e32 vcc_lo, 31, v10
	s_wait_alu 0xfffd
	v_cndmask_b32_e32 v11, 0x7c00, v11, vcc_lo
	v_cmp_gt_i32_e32 vcc_lo, 31, v12
	s_wait_alu 0xfffd
	v_cndmask_b32_e32 v6, 0x7c00, v6, vcc_lo
	v_cmp_eq_u32_e32 vcc_lo, 0x40f, v10
	s_wait_alu 0xfffd
	v_cndmask_b32_e32 v4, v11, v4, vcc_lo
	v_cmp_eq_u32_e32 vcc_lo, 0x40f, v12
	s_delay_alu instid0(VALU_DEP_2)
	v_and_or_b32 v4, 0x8000, v7, v4
	s_wait_alu 0xfffd
	v_cndmask_b32_e32 v6, v6, v8, vcc_lo
	v_add_co_u32 v2, vcc_lo, v2, s6
	s_wait_alu 0xfffd
	v_add_co_ci_u32_e32 v3, vcc_lo, s7, v3, vcc_lo
	s_delay_alu instid0(VALU_DEP_3) | instskip(SKIP_1) | instid1(VALU_DEP_1)
	v_and_or_b32 v6, 0x8000, v9, v6
	v_and_b32_e32 v4, 0xffff, v4
	v_lshl_or_b32 v4, v6, 16, v4
	v_lshrrev_b32_e32 v6, 16, v5
	global_store_b32 v[2:3], v4, off
	global_load_b32 v4, v30, s[12:13] offset:104
	s_wait_loadcnt 0x0
	v_lshrrev_b32_e32 v7, 16, v4
	s_delay_alu instid0(VALU_DEP_1) | instskip(SKIP_1) | instid1(VALU_DEP_2)
	v_mul_f16_e32 v8, v6, v7
	v_mul_f16_e32 v7, v5, v7
	v_fmac_f16_e32 v8, v5, v4
	s_delay_alu instid0(VALU_DEP_2) | instskip(NEXT) | instid1(VALU_DEP_2)
	v_fma_f16 v4, v4, v6, -v7
	v_cvt_f32_f16_e32 v5, v8
	s_delay_alu instid0(VALU_DEP_2) | instskip(NEXT) | instid1(VALU_DEP_2)
	v_cvt_f32_f16_e32 v6, v4
	v_cvt_f64_f32_e32 v[4:5], v5
	s_delay_alu instid0(VALU_DEP_2) | instskip(NEXT) | instid1(VALU_DEP_2)
	v_cvt_f64_f32_e32 v[6:7], v6
	v_mul_f64_e32 v[4:5], s[8:9], v[4:5]
	s_delay_alu instid0(VALU_DEP_2) | instskip(NEXT) | instid1(VALU_DEP_2)
	v_mul_f64_e32 v[6:7], s[8:9], v[6:7]
	v_and_or_b32 v4, 0x1ff, v5, v4
	s_delay_alu instid0(VALU_DEP_2)
	v_and_or_b32 v6, 0x1ff, v7, v6
	v_lshrrev_b32_e32 v8, 8, v5
	v_bfe_u32 v9, v5, 20, 11
	v_lshrrev_b32_e32 v10, 8, v7
	v_cmp_ne_u32_e32 vcc_lo, 0, v4
	v_bfe_u32 v11, v7, 20, 11
	v_lshrrev_b32_e32 v5, 16, v5
	v_sub_nc_u32_e32 v12, 0x3f1, v9
	v_add_nc_u32_e32 v9, 0xfffffc10, v9
	s_wait_alu 0xfffd
	v_cndmask_b32_e64 v4, 0, 1, vcc_lo
	v_cmp_ne_u32_e32 vcc_lo, 0, v6
	v_lshrrev_b32_e32 v7, 16, v7
	s_delay_alu instid0(VALU_DEP_3) | instskip(SKIP_4) | instid1(VALU_DEP_3)
	v_and_or_b32 v4, 0xffe, v8, v4
	s_wait_alu 0xfffd
	v_cndmask_b32_e64 v6, 0, 1, vcc_lo
	v_sub_nc_u32_e32 v8, 0x3f1, v11
	v_add_nc_u32_e32 v11, 0xfffffc10, v11
	v_and_or_b32 v6, 0xffe, v10, v6
	v_med3_i32 v10, v12, 0, 13
	v_or_b32_e32 v12, 0x1000, v4
	v_med3_i32 v8, v8, 0, 13
	s_delay_alu instid0(VALU_DEP_4) | instskip(NEXT) | instid1(VALU_DEP_3)
	v_or_b32_e32 v13, 0x1000, v6
	v_lshrrev_b32_e32 v14, v10, v12
	s_delay_alu instid0(VALU_DEP_2) | instskip(NEXT) | instid1(VALU_DEP_2)
	v_lshrrev_b32_e32 v15, v8, v13
	v_lshlrev_b32_e32 v10, v10, v14
	s_delay_alu instid0(VALU_DEP_2) | instskip(NEXT) | instid1(VALU_DEP_2)
	v_lshlrev_b32_e32 v8, v8, v15
	v_cmp_ne_u32_e32 vcc_lo, v10, v12
	v_lshl_or_b32 v12, v9, 12, v4
	s_wait_alu 0xfffd
	v_cndmask_b32_e64 v10, 0, 1, vcc_lo
	v_cmp_ne_u32_e32 vcc_lo, v8, v13
	v_lshl_or_b32 v13, v11, 12, v6
	s_delay_alu instid0(VALU_DEP_3) | instskip(SKIP_3) | instid1(VALU_DEP_2)
	v_or_b32_e32 v10, v14, v10
	s_wait_alu 0xfffd
	v_cndmask_b32_e64 v8, 0, 1, vcc_lo
	v_cmp_gt_i32_e32 vcc_lo, 1, v9
	v_or_b32_e32 v8, v15, v8
	s_wait_alu 0xfffd
	v_cndmask_b32_e32 v10, v12, v10, vcc_lo
	v_cmp_gt_i32_e32 vcc_lo, 1, v11
	s_delay_alu instid0(VALU_DEP_2)
	v_and_b32_e32 v12, 7, v10
	s_wait_alu 0xfffd
	v_cndmask_b32_e32 v8, v13, v8, vcc_lo
	v_cmp_ne_u32_e32 vcc_lo, 0, v4
	v_lshrrev_b32_e32 v10, 2, v10
	v_cmp_eq_u32_e64 s0, 3, v12
	s_delay_alu instid0(VALU_DEP_4)
	v_and_b32_e32 v13, 7, v8
	s_wait_alu 0xfffd
	v_cndmask_b32_e64 v4, 0, 1, vcc_lo
	v_cmp_ne_u32_e32 vcc_lo, 0, v6
	v_lshrrev_b32_e32 v8, 2, v8
	v_cmp_lt_i32_e64 s1, 5, v13
	v_cmp_eq_u32_e64 s2, 3, v13
	s_wait_alu 0xfffd
	v_cndmask_b32_e64 v6, 0, 1, vcc_lo
	v_cmp_lt_i32_e32 vcc_lo, 5, v12
	v_lshl_or_b32 v4, v4, 9, 0x7c00
	s_delay_alu instid0(VALU_DEP_3)
	v_lshl_or_b32 v6, v6, 9, 0x7c00
	s_or_b32 vcc_lo, s0, vcc_lo
	s_wait_alu 0xfffe
	v_add_co_ci_u32_e32 v10, vcc_lo, 0, v10, vcc_lo
	s_or_b32 vcc_lo, s2, s1
	s_wait_alu 0xfffe
	v_add_co_ci_u32_e32 v8, vcc_lo, 0, v8, vcc_lo
	v_cmp_gt_i32_e32 vcc_lo, 31, v9
	s_wait_alu 0xfffd
	v_cndmask_b32_e32 v10, 0x7c00, v10, vcc_lo
	v_cmp_gt_i32_e32 vcc_lo, 31, v11
	s_wait_alu 0xfffd
	v_cndmask_b32_e32 v8, 0x7c00, v8, vcc_lo
	v_cmp_eq_u32_e32 vcc_lo, 0x40f, v9
	s_wait_alu 0xfffd
	v_cndmask_b32_e32 v4, v10, v4, vcc_lo
	v_cmp_eq_u32_e32 vcc_lo, 0x40f, v11
	s_delay_alu instid0(VALU_DEP_2)
	v_and_or_b32 v4, 0x8000, v5, v4
	s_wait_alu 0xfffd
	v_cndmask_b32_e32 v6, v8, v6, vcc_lo
	v_add_co_u32 v2, vcc_lo, v2, s6
	s_wait_alu 0xfffd
	v_add_co_ci_u32_e32 v3, vcc_lo, s7, v3, vcc_lo
	s_delay_alu instid0(VALU_DEP_3) | instskip(SKIP_1) | instid1(VALU_DEP_1)
	v_and_or_b32 v5, 0x8000, v7, v6
	v_and_b32_e32 v4, 0xffff, v4
	v_lshl_or_b32 v4, v5, 16, v4
	global_store_b32 v[2:3], v4, off
	global_load_b32 v6, v30, s[12:13] offset:156
	ds_load_2addr_b32 v[4:5], v33 offset0:39 offset1:52
	s_wait_dscnt 0x0
	v_lshrrev_b32_e32 v7, 16, v4
	s_wait_loadcnt 0x0
	v_lshrrev_b32_e32 v8, 16, v6
	s_delay_alu instid0(VALU_DEP_1) | instskip(SKIP_1) | instid1(VALU_DEP_2)
	v_mul_f16_e32 v9, v7, v8
	v_mul_f16_e32 v8, v4, v8
	v_fmac_f16_e32 v9, v4, v6
	s_delay_alu instid0(VALU_DEP_2) | instskip(NEXT) | instid1(VALU_DEP_2)
	v_fma_f16 v4, v6, v7, -v8
	v_cvt_f32_f16_e32 v6, v9
	s_delay_alu instid0(VALU_DEP_2) | instskip(NEXT) | instid1(VALU_DEP_2)
	v_cvt_f32_f16_e32 v4, v4
	v_cvt_f64_f32_e32 v[6:7], v6
	s_delay_alu instid0(VALU_DEP_2) | instskip(NEXT) | instid1(VALU_DEP_2)
	v_cvt_f64_f32_e32 v[8:9], v4
	v_mul_f64_e32 v[6:7], s[8:9], v[6:7]
	s_delay_alu instid0(VALU_DEP_2) | instskip(NEXT) | instid1(VALU_DEP_2)
	v_mul_f64_e32 v[8:9], s[8:9], v[8:9]
	v_and_or_b32 v4, 0x1ff, v7, v6
	s_delay_alu instid0(VALU_DEP_2)
	v_and_or_b32 v8, 0x1ff, v9, v8
	v_lshrrev_b32_e32 v6, 8, v7
	v_bfe_u32 v10, v7, 20, 11
	v_lshrrev_b32_e32 v11, 8, v9
	v_cmp_ne_u32_e32 vcc_lo, 0, v4
	v_bfe_u32 v12, v9, 20, 11
	v_lshrrev_b32_e32 v7, 16, v7
	v_sub_nc_u32_e32 v13, 0x3f1, v10
	v_add_nc_u32_e32 v10, 0xfffffc10, v10
	s_wait_alu 0xfffd
	v_cndmask_b32_e64 v4, 0, 1, vcc_lo
	v_cmp_ne_u32_e32 vcc_lo, 0, v8
	v_lshrrev_b32_e32 v9, 16, v9
	s_delay_alu instid0(VALU_DEP_3) | instskip(SKIP_4) | instid1(VALU_DEP_3)
	v_and_or_b32 v4, 0xffe, v6, v4
	s_wait_alu 0xfffd
	v_cndmask_b32_e64 v8, 0, 1, vcc_lo
	v_sub_nc_u32_e32 v6, 0x3f1, v12
	v_add_nc_u32_e32 v12, 0xfffffc10, v12
	v_and_or_b32 v8, 0xffe, v11, v8
	v_med3_i32 v11, v13, 0, 13
	v_or_b32_e32 v13, 0x1000, v4
	v_med3_i32 v6, v6, 0, 13
	s_delay_alu instid0(VALU_DEP_4) | instskip(NEXT) | instid1(VALU_DEP_3)
	v_or_b32_e32 v14, 0x1000, v8
	v_lshrrev_b32_e32 v15, v11, v13
	s_delay_alu instid0(VALU_DEP_2) | instskip(NEXT) | instid1(VALU_DEP_2)
	v_lshrrev_b32_e32 v16, v6, v14
	v_lshlrev_b32_e32 v11, v11, v15
	s_delay_alu instid0(VALU_DEP_2) | instskip(NEXT) | instid1(VALU_DEP_2)
	v_lshlrev_b32_e32 v6, v6, v16
	v_cmp_ne_u32_e32 vcc_lo, v11, v13
	v_lshl_or_b32 v13, v10, 12, v4
	s_wait_alu 0xfffd
	v_cndmask_b32_e64 v11, 0, 1, vcc_lo
	v_cmp_ne_u32_e32 vcc_lo, v6, v14
	v_lshl_or_b32 v14, v12, 12, v8
	s_delay_alu instid0(VALU_DEP_3) | instskip(SKIP_3) | instid1(VALU_DEP_2)
	v_or_b32_e32 v11, v15, v11
	s_wait_alu 0xfffd
	v_cndmask_b32_e64 v6, 0, 1, vcc_lo
	v_cmp_gt_i32_e32 vcc_lo, 1, v10
	v_or_b32_e32 v6, v16, v6
	s_wait_alu 0xfffd
	v_cndmask_b32_e32 v11, v13, v11, vcc_lo
	v_cmp_gt_i32_e32 vcc_lo, 1, v12
	s_wait_alu 0xfffd
	s_delay_alu instid0(VALU_DEP_2) | instskip(SKIP_2) | instid1(VALU_DEP_3)
	v_dual_cndmask_b32 v6, v14, v6 :: v_dual_and_b32 v13, 7, v11
	v_cmp_ne_u32_e32 vcc_lo, 0, v4
	v_lshrrev_b32_e32 v11, 2, v11
	v_cmp_eq_u32_e64 s0, 3, v13
	s_delay_alu instid0(VALU_DEP_4)
	v_and_b32_e32 v14, 7, v6
	s_wait_alu 0xfffd
	v_cndmask_b32_e64 v4, 0, 1, vcc_lo
	v_cmp_ne_u32_e32 vcc_lo, 0, v8
	v_lshrrev_b32_e32 v6, 2, v6
	v_cmp_lt_i32_e64 s1, 5, v14
	v_cmp_eq_u32_e64 s2, 3, v14
	s_wait_alu 0xfffd
	v_cndmask_b32_e64 v8, 0, 1, vcc_lo
	v_cmp_lt_i32_e32 vcc_lo, 5, v13
	v_lshl_or_b32 v4, v4, 9, 0x7c00
	s_delay_alu instid0(VALU_DEP_3)
	v_lshl_or_b32 v8, v8, 9, 0x7c00
	s_or_b32 vcc_lo, s0, vcc_lo
	s_wait_alu 0xfffe
	v_add_co_ci_u32_e32 v11, vcc_lo, 0, v11, vcc_lo
	s_or_b32 vcc_lo, s2, s1
	s_wait_alu 0xfffe
	v_add_co_ci_u32_e32 v6, vcc_lo, 0, v6, vcc_lo
	v_cmp_gt_i32_e32 vcc_lo, 31, v10
	s_wait_alu 0xfffd
	v_cndmask_b32_e32 v11, 0x7c00, v11, vcc_lo
	v_cmp_gt_i32_e32 vcc_lo, 31, v12
	s_wait_alu 0xfffd
	v_cndmask_b32_e32 v6, 0x7c00, v6, vcc_lo
	v_cmp_eq_u32_e32 vcc_lo, 0x40f, v10
	s_wait_alu 0xfffd
	v_cndmask_b32_e32 v4, v11, v4, vcc_lo
	v_cmp_eq_u32_e32 vcc_lo, 0x40f, v12
	s_delay_alu instid0(VALU_DEP_2)
	v_and_or_b32 v4, 0x8000, v7, v4
	s_wait_alu 0xfffd
	v_cndmask_b32_e32 v6, v6, v8, vcc_lo
	v_add_co_u32 v2, vcc_lo, v2, s6
	s_wait_alu 0xfffd
	v_add_co_ci_u32_e32 v3, vcc_lo, s7, v3, vcc_lo
	s_delay_alu instid0(VALU_DEP_3) | instskip(SKIP_1) | instid1(VALU_DEP_1)
	v_and_or_b32 v6, 0x8000, v9, v6
	v_and_b32_e32 v4, 0xffff, v4
	v_lshl_or_b32 v4, v6, 16, v4
	v_lshrrev_b32_e32 v6, 16, v5
	global_store_b32 v[2:3], v4, off
	global_load_b32 v4, v30, s[12:13] offset:208
	s_wait_loadcnt 0x0
	v_lshrrev_b32_e32 v7, 16, v4
	s_delay_alu instid0(VALU_DEP_1) | instskip(SKIP_1) | instid1(VALU_DEP_2)
	v_mul_f16_e32 v8, v6, v7
	v_mul_f16_e32 v7, v5, v7
	v_fmac_f16_e32 v8, v5, v4
	s_delay_alu instid0(VALU_DEP_2) | instskip(NEXT) | instid1(VALU_DEP_2)
	v_fma_f16 v4, v4, v6, -v7
	v_cvt_f32_f16_e32 v5, v8
	s_delay_alu instid0(VALU_DEP_2) | instskip(NEXT) | instid1(VALU_DEP_2)
	v_cvt_f32_f16_e32 v6, v4
	v_cvt_f64_f32_e32 v[4:5], v5
	s_delay_alu instid0(VALU_DEP_2) | instskip(NEXT) | instid1(VALU_DEP_2)
	v_cvt_f64_f32_e32 v[6:7], v6
	v_mul_f64_e32 v[4:5], s[8:9], v[4:5]
	s_delay_alu instid0(VALU_DEP_2) | instskip(NEXT) | instid1(VALU_DEP_2)
	v_mul_f64_e32 v[6:7], s[8:9], v[6:7]
	v_and_or_b32 v4, 0x1ff, v5, v4
	s_delay_alu instid0(VALU_DEP_2)
	v_and_or_b32 v6, 0x1ff, v7, v6
	v_lshrrev_b32_e32 v8, 8, v5
	v_bfe_u32 v9, v5, 20, 11
	v_lshrrev_b32_e32 v10, 8, v7
	v_cmp_ne_u32_e32 vcc_lo, 0, v4
	v_bfe_u32 v11, v7, 20, 11
	v_lshrrev_b32_e32 v5, 16, v5
	v_sub_nc_u32_e32 v12, 0x3f1, v9
	v_add_nc_u32_e32 v9, 0xfffffc10, v9
	s_wait_alu 0xfffd
	v_cndmask_b32_e64 v4, 0, 1, vcc_lo
	v_cmp_ne_u32_e32 vcc_lo, 0, v6
	v_lshrrev_b32_e32 v7, 16, v7
	s_delay_alu instid0(VALU_DEP_3) | instskip(SKIP_4) | instid1(VALU_DEP_3)
	v_and_or_b32 v4, 0xffe, v8, v4
	s_wait_alu 0xfffd
	v_cndmask_b32_e64 v6, 0, 1, vcc_lo
	v_sub_nc_u32_e32 v8, 0x3f1, v11
	v_add_nc_u32_e32 v11, 0xfffffc10, v11
	v_and_or_b32 v6, 0xffe, v10, v6
	v_med3_i32 v10, v12, 0, 13
	v_or_b32_e32 v12, 0x1000, v4
	v_med3_i32 v8, v8, 0, 13
	s_delay_alu instid0(VALU_DEP_4) | instskip(NEXT) | instid1(VALU_DEP_3)
	v_or_b32_e32 v13, 0x1000, v6
	v_lshrrev_b32_e32 v14, v10, v12
	s_delay_alu instid0(VALU_DEP_2) | instskip(NEXT) | instid1(VALU_DEP_2)
	v_lshrrev_b32_e32 v15, v8, v13
	v_lshlrev_b32_e32 v10, v10, v14
	s_delay_alu instid0(VALU_DEP_2) | instskip(NEXT) | instid1(VALU_DEP_2)
	v_lshlrev_b32_e32 v8, v8, v15
	v_cmp_ne_u32_e32 vcc_lo, v10, v12
	v_lshl_or_b32 v12, v9, 12, v4
	s_wait_alu 0xfffd
	v_cndmask_b32_e64 v10, 0, 1, vcc_lo
	v_cmp_ne_u32_e32 vcc_lo, v8, v13
	v_lshl_or_b32 v13, v11, 12, v6
	s_delay_alu instid0(VALU_DEP_3) | instskip(SKIP_3) | instid1(VALU_DEP_2)
	v_or_b32_e32 v10, v14, v10
	s_wait_alu 0xfffd
	v_cndmask_b32_e64 v8, 0, 1, vcc_lo
	v_cmp_gt_i32_e32 vcc_lo, 1, v9
	v_or_b32_e32 v8, v15, v8
	s_wait_alu 0xfffd
	v_cndmask_b32_e32 v10, v12, v10, vcc_lo
	v_cmp_gt_i32_e32 vcc_lo, 1, v11
	s_delay_alu instid0(VALU_DEP_2)
	v_and_b32_e32 v12, 7, v10
	s_wait_alu 0xfffd
	v_cndmask_b32_e32 v8, v13, v8, vcc_lo
	v_cmp_ne_u32_e32 vcc_lo, 0, v4
	v_lshrrev_b32_e32 v10, 2, v10
	v_cmp_eq_u32_e64 s0, 3, v12
	s_delay_alu instid0(VALU_DEP_4)
	v_and_b32_e32 v13, 7, v8
	s_wait_alu 0xfffd
	v_cndmask_b32_e64 v4, 0, 1, vcc_lo
	v_cmp_ne_u32_e32 vcc_lo, 0, v6
	v_lshrrev_b32_e32 v8, 2, v8
	v_cmp_lt_i32_e64 s1, 5, v13
	v_cmp_eq_u32_e64 s2, 3, v13
	s_wait_alu 0xfffd
	v_cndmask_b32_e64 v6, 0, 1, vcc_lo
	v_cmp_lt_i32_e32 vcc_lo, 5, v12
	v_lshl_or_b32 v4, v4, 9, 0x7c00
	s_delay_alu instid0(VALU_DEP_3)
	v_lshl_or_b32 v6, v6, 9, 0x7c00
	s_or_b32 vcc_lo, s0, vcc_lo
	s_wait_alu 0xfffe
	v_add_co_ci_u32_e32 v10, vcc_lo, 0, v10, vcc_lo
	s_or_b32 vcc_lo, s2, s1
	s_wait_alu 0xfffe
	v_add_co_ci_u32_e32 v8, vcc_lo, 0, v8, vcc_lo
	v_cmp_gt_i32_e32 vcc_lo, 31, v9
	s_wait_alu 0xfffd
	v_cndmask_b32_e32 v10, 0x7c00, v10, vcc_lo
	v_cmp_gt_i32_e32 vcc_lo, 31, v11
	s_wait_alu 0xfffd
	v_cndmask_b32_e32 v8, 0x7c00, v8, vcc_lo
	v_cmp_eq_u32_e32 vcc_lo, 0x40f, v9
	s_wait_alu 0xfffd
	v_cndmask_b32_e32 v4, v10, v4, vcc_lo
	v_cmp_eq_u32_e32 vcc_lo, 0x40f, v11
	s_delay_alu instid0(VALU_DEP_2)
	v_and_or_b32 v4, 0x8000, v5, v4
	s_wait_alu 0xfffd
	v_cndmask_b32_e32 v6, v8, v6, vcc_lo
	v_add_co_u32 v2, vcc_lo, v2, s6
	s_wait_alu 0xfffd
	v_add_co_ci_u32_e32 v3, vcc_lo, s7, v3, vcc_lo
	s_delay_alu instid0(VALU_DEP_3) | instskip(SKIP_1) | instid1(VALU_DEP_1)
	v_and_or_b32 v5, 0x8000, v7, v6
	v_and_b32_e32 v4, 0xffff, v4
	v_lshl_or_b32 v4, v5, 16, v4
	global_store_b32 v[2:3], v4, off
	global_load_b32 v6, v30, s[12:13] offset:260
	ds_load_2addr_b32 v[4:5], v33 offset0:65 offset1:78
	s_wait_dscnt 0x0
	v_lshrrev_b32_e32 v7, 16, v4
	s_wait_loadcnt 0x0
	v_lshrrev_b32_e32 v8, 16, v6
	s_delay_alu instid0(VALU_DEP_1) | instskip(SKIP_1) | instid1(VALU_DEP_2)
	v_mul_f16_e32 v9, v7, v8
	v_mul_f16_e32 v8, v4, v8
	v_fmac_f16_e32 v9, v4, v6
	s_delay_alu instid0(VALU_DEP_2) | instskip(NEXT) | instid1(VALU_DEP_2)
	v_fma_f16 v4, v6, v7, -v8
	v_cvt_f32_f16_e32 v6, v9
	s_delay_alu instid0(VALU_DEP_2) | instskip(NEXT) | instid1(VALU_DEP_2)
	v_cvt_f32_f16_e32 v4, v4
	v_cvt_f64_f32_e32 v[6:7], v6
	s_delay_alu instid0(VALU_DEP_2) | instskip(NEXT) | instid1(VALU_DEP_2)
	v_cvt_f64_f32_e32 v[8:9], v4
	v_mul_f64_e32 v[6:7], s[8:9], v[6:7]
	s_delay_alu instid0(VALU_DEP_2) | instskip(NEXT) | instid1(VALU_DEP_2)
	v_mul_f64_e32 v[8:9], s[8:9], v[8:9]
	v_and_or_b32 v4, 0x1ff, v7, v6
	s_delay_alu instid0(VALU_DEP_2)
	v_and_or_b32 v8, 0x1ff, v9, v8
	v_lshrrev_b32_e32 v6, 8, v7
	v_bfe_u32 v10, v7, 20, 11
	v_lshrrev_b32_e32 v11, 8, v9
	v_cmp_ne_u32_e32 vcc_lo, 0, v4
	v_bfe_u32 v12, v9, 20, 11
	v_lshrrev_b32_e32 v7, 16, v7
	v_sub_nc_u32_e32 v13, 0x3f1, v10
	v_add_nc_u32_e32 v10, 0xfffffc10, v10
	s_wait_alu 0xfffd
	v_cndmask_b32_e64 v4, 0, 1, vcc_lo
	v_cmp_ne_u32_e32 vcc_lo, 0, v8
	v_lshrrev_b32_e32 v9, 16, v9
	s_delay_alu instid0(VALU_DEP_3) | instskip(SKIP_4) | instid1(VALU_DEP_3)
	v_and_or_b32 v4, 0xffe, v6, v4
	s_wait_alu 0xfffd
	v_cndmask_b32_e64 v8, 0, 1, vcc_lo
	v_sub_nc_u32_e32 v6, 0x3f1, v12
	v_add_nc_u32_e32 v12, 0xfffffc10, v12
	v_and_or_b32 v8, 0xffe, v11, v8
	v_med3_i32 v11, v13, 0, 13
	v_or_b32_e32 v13, 0x1000, v4
	v_med3_i32 v6, v6, 0, 13
	s_delay_alu instid0(VALU_DEP_4) | instskip(NEXT) | instid1(VALU_DEP_3)
	v_or_b32_e32 v14, 0x1000, v8
	v_lshrrev_b32_e32 v15, v11, v13
	s_delay_alu instid0(VALU_DEP_2) | instskip(NEXT) | instid1(VALU_DEP_2)
	v_lshrrev_b32_e32 v16, v6, v14
	v_lshlrev_b32_e32 v11, v11, v15
	s_delay_alu instid0(VALU_DEP_2) | instskip(NEXT) | instid1(VALU_DEP_2)
	v_lshlrev_b32_e32 v6, v6, v16
	v_cmp_ne_u32_e32 vcc_lo, v11, v13
	v_lshl_or_b32 v13, v10, 12, v4
	s_wait_alu 0xfffd
	v_cndmask_b32_e64 v11, 0, 1, vcc_lo
	v_cmp_ne_u32_e32 vcc_lo, v6, v14
	v_lshl_or_b32 v14, v12, 12, v8
	s_delay_alu instid0(VALU_DEP_3) | instskip(SKIP_3) | instid1(VALU_DEP_2)
	v_or_b32_e32 v11, v15, v11
	s_wait_alu 0xfffd
	v_cndmask_b32_e64 v6, 0, 1, vcc_lo
	v_cmp_gt_i32_e32 vcc_lo, 1, v10
	v_or_b32_e32 v6, v16, v6
	s_wait_alu 0xfffd
	v_cndmask_b32_e32 v11, v13, v11, vcc_lo
	v_cmp_gt_i32_e32 vcc_lo, 1, v12
	s_wait_alu 0xfffd
	s_delay_alu instid0(VALU_DEP_2) | instskip(SKIP_2) | instid1(VALU_DEP_3)
	v_dual_cndmask_b32 v6, v14, v6 :: v_dual_and_b32 v13, 7, v11
	v_cmp_ne_u32_e32 vcc_lo, 0, v4
	v_lshrrev_b32_e32 v11, 2, v11
	v_cmp_eq_u32_e64 s0, 3, v13
	s_delay_alu instid0(VALU_DEP_4)
	v_and_b32_e32 v14, 7, v6
	s_wait_alu 0xfffd
	v_cndmask_b32_e64 v4, 0, 1, vcc_lo
	v_cmp_ne_u32_e32 vcc_lo, 0, v8
	v_lshrrev_b32_e32 v6, 2, v6
	v_cmp_lt_i32_e64 s1, 5, v14
	v_cmp_eq_u32_e64 s2, 3, v14
	s_wait_alu 0xfffd
	v_cndmask_b32_e64 v8, 0, 1, vcc_lo
	v_cmp_lt_i32_e32 vcc_lo, 5, v13
	v_lshl_or_b32 v4, v4, 9, 0x7c00
	s_delay_alu instid0(VALU_DEP_3)
	v_lshl_or_b32 v8, v8, 9, 0x7c00
	s_or_b32 vcc_lo, s0, vcc_lo
	s_wait_alu 0xfffe
	v_add_co_ci_u32_e32 v11, vcc_lo, 0, v11, vcc_lo
	s_or_b32 vcc_lo, s2, s1
	s_wait_alu 0xfffe
	v_add_co_ci_u32_e32 v6, vcc_lo, 0, v6, vcc_lo
	v_cmp_gt_i32_e32 vcc_lo, 31, v10
	s_wait_alu 0xfffd
	v_cndmask_b32_e32 v11, 0x7c00, v11, vcc_lo
	v_cmp_gt_i32_e32 vcc_lo, 31, v12
	s_wait_alu 0xfffd
	v_cndmask_b32_e32 v6, 0x7c00, v6, vcc_lo
	v_cmp_eq_u32_e32 vcc_lo, 0x40f, v10
	s_wait_alu 0xfffd
	v_cndmask_b32_e32 v4, v11, v4, vcc_lo
	v_cmp_eq_u32_e32 vcc_lo, 0x40f, v12
	s_delay_alu instid0(VALU_DEP_2)
	v_and_or_b32 v4, 0x8000, v7, v4
	s_wait_alu 0xfffd
	v_cndmask_b32_e32 v6, v6, v8, vcc_lo
	v_add_co_u32 v2, vcc_lo, v2, s6
	s_wait_alu 0xfffd
	v_add_co_ci_u32_e32 v3, vcc_lo, s7, v3, vcc_lo
	s_delay_alu instid0(VALU_DEP_3) | instskip(SKIP_1) | instid1(VALU_DEP_1)
	v_and_or_b32 v6, 0x8000, v9, v6
	v_and_b32_e32 v4, 0xffff, v4
	v_lshl_or_b32 v4, v6, 16, v4
	v_lshrrev_b32_e32 v6, 16, v5
	global_store_b32 v[2:3], v4, off
	global_load_b32 v4, v30, s[12:13] offset:312
	s_wait_loadcnt 0x0
	v_lshrrev_b32_e32 v7, 16, v4
	s_delay_alu instid0(VALU_DEP_1) | instskip(SKIP_1) | instid1(VALU_DEP_2)
	v_mul_f16_e32 v8, v6, v7
	v_mul_f16_e32 v7, v5, v7
	v_fmac_f16_e32 v8, v5, v4
	s_delay_alu instid0(VALU_DEP_2) | instskip(NEXT) | instid1(VALU_DEP_2)
	v_fma_f16 v4, v4, v6, -v7
	v_cvt_f32_f16_e32 v5, v8
	s_delay_alu instid0(VALU_DEP_2) | instskip(NEXT) | instid1(VALU_DEP_2)
	v_cvt_f32_f16_e32 v6, v4
	v_cvt_f64_f32_e32 v[4:5], v5
	s_delay_alu instid0(VALU_DEP_2) | instskip(NEXT) | instid1(VALU_DEP_2)
	v_cvt_f64_f32_e32 v[6:7], v6
	v_mul_f64_e32 v[4:5], s[8:9], v[4:5]
	s_delay_alu instid0(VALU_DEP_2) | instskip(NEXT) | instid1(VALU_DEP_2)
	v_mul_f64_e32 v[6:7], s[8:9], v[6:7]
	v_and_or_b32 v4, 0x1ff, v5, v4
	s_delay_alu instid0(VALU_DEP_2)
	v_and_or_b32 v6, 0x1ff, v7, v6
	v_lshrrev_b32_e32 v8, 8, v5
	v_bfe_u32 v9, v5, 20, 11
	v_lshrrev_b32_e32 v10, 8, v7
	v_cmp_ne_u32_e32 vcc_lo, 0, v4
	v_bfe_u32 v11, v7, 20, 11
	v_lshrrev_b32_e32 v5, 16, v5
	v_sub_nc_u32_e32 v12, 0x3f1, v9
	v_add_nc_u32_e32 v9, 0xfffffc10, v9
	s_wait_alu 0xfffd
	v_cndmask_b32_e64 v4, 0, 1, vcc_lo
	v_cmp_ne_u32_e32 vcc_lo, 0, v6
	v_lshrrev_b32_e32 v7, 16, v7
	s_delay_alu instid0(VALU_DEP_3) | instskip(SKIP_4) | instid1(VALU_DEP_3)
	v_and_or_b32 v4, 0xffe, v8, v4
	s_wait_alu 0xfffd
	v_cndmask_b32_e64 v6, 0, 1, vcc_lo
	v_sub_nc_u32_e32 v8, 0x3f1, v11
	v_add_nc_u32_e32 v11, 0xfffffc10, v11
	v_and_or_b32 v6, 0xffe, v10, v6
	v_med3_i32 v10, v12, 0, 13
	v_or_b32_e32 v12, 0x1000, v4
	v_med3_i32 v8, v8, 0, 13
	s_delay_alu instid0(VALU_DEP_4) | instskip(NEXT) | instid1(VALU_DEP_3)
	v_or_b32_e32 v13, 0x1000, v6
	v_lshrrev_b32_e32 v14, v10, v12
	s_delay_alu instid0(VALU_DEP_2) | instskip(NEXT) | instid1(VALU_DEP_2)
	v_lshrrev_b32_e32 v15, v8, v13
	v_lshlrev_b32_e32 v10, v10, v14
	s_delay_alu instid0(VALU_DEP_2) | instskip(NEXT) | instid1(VALU_DEP_2)
	v_lshlrev_b32_e32 v8, v8, v15
	v_cmp_ne_u32_e32 vcc_lo, v10, v12
	v_lshl_or_b32 v12, v9, 12, v4
	s_wait_alu 0xfffd
	v_cndmask_b32_e64 v10, 0, 1, vcc_lo
	v_cmp_ne_u32_e32 vcc_lo, v8, v13
	v_lshl_or_b32 v13, v11, 12, v6
	s_delay_alu instid0(VALU_DEP_3) | instskip(SKIP_3) | instid1(VALU_DEP_2)
	v_or_b32_e32 v10, v14, v10
	s_wait_alu 0xfffd
	v_cndmask_b32_e64 v8, 0, 1, vcc_lo
	v_cmp_gt_i32_e32 vcc_lo, 1, v9
	v_or_b32_e32 v8, v15, v8
	s_wait_alu 0xfffd
	v_cndmask_b32_e32 v10, v12, v10, vcc_lo
	v_cmp_gt_i32_e32 vcc_lo, 1, v11
	s_delay_alu instid0(VALU_DEP_2)
	v_and_b32_e32 v12, 7, v10
	s_wait_alu 0xfffd
	v_cndmask_b32_e32 v8, v13, v8, vcc_lo
	v_cmp_ne_u32_e32 vcc_lo, 0, v4
	v_lshrrev_b32_e32 v10, 2, v10
	v_cmp_eq_u32_e64 s0, 3, v12
	s_delay_alu instid0(VALU_DEP_4)
	v_and_b32_e32 v13, 7, v8
	s_wait_alu 0xfffd
	v_cndmask_b32_e64 v4, 0, 1, vcc_lo
	v_cmp_ne_u32_e32 vcc_lo, 0, v6
	v_lshrrev_b32_e32 v8, 2, v8
	v_cmp_lt_i32_e64 s1, 5, v13
	v_cmp_eq_u32_e64 s2, 3, v13
	s_wait_alu 0xfffd
	v_cndmask_b32_e64 v6, 0, 1, vcc_lo
	v_cmp_lt_i32_e32 vcc_lo, 5, v12
	v_lshl_or_b32 v4, v4, 9, 0x7c00
	s_delay_alu instid0(VALU_DEP_3)
	v_lshl_or_b32 v6, v6, 9, 0x7c00
	s_or_b32 vcc_lo, s0, vcc_lo
	s_wait_alu 0xfffe
	v_add_co_ci_u32_e32 v10, vcc_lo, 0, v10, vcc_lo
	s_or_b32 vcc_lo, s2, s1
	s_wait_alu 0xfffe
	v_add_co_ci_u32_e32 v8, vcc_lo, 0, v8, vcc_lo
	v_cmp_gt_i32_e32 vcc_lo, 31, v9
	s_wait_alu 0xfffd
	v_cndmask_b32_e32 v10, 0x7c00, v10, vcc_lo
	v_cmp_gt_i32_e32 vcc_lo, 31, v11
	s_wait_alu 0xfffd
	v_cndmask_b32_e32 v8, 0x7c00, v8, vcc_lo
	v_cmp_eq_u32_e32 vcc_lo, 0x40f, v9
	s_wait_alu 0xfffd
	v_cndmask_b32_e32 v4, v10, v4, vcc_lo
	v_cmp_eq_u32_e32 vcc_lo, 0x40f, v11
	s_delay_alu instid0(VALU_DEP_2)
	v_and_or_b32 v4, 0x8000, v5, v4
	s_wait_alu 0xfffd
	v_cndmask_b32_e32 v6, v8, v6, vcc_lo
	v_add_co_u32 v2, vcc_lo, v2, s6
	s_wait_alu 0xfffd
	v_add_co_ci_u32_e32 v3, vcc_lo, s7, v3, vcc_lo
	s_delay_alu instid0(VALU_DEP_3) | instskip(SKIP_1) | instid1(VALU_DEP_1)
	v_and_or_b32 v5, 0x8000, v7, v6
	v_and_b32_e32 v4, 0xffff, v4
	v_lshl_or_b32 v4, v5, 16, v4
	global_store_b32 v[2:3], v4, off
	global_load_b32 v6, v30, s[12:13] offset:364
	ds_load_2addr_b32 v[4:5], v33 offset0:91 offset1:104
	s_wait_dscnt 0x0
	v_lshrrev_b32_e32 v7, 16, v4
	s_wait_loadcnt 0x0
	v_lshrrev_b32_e32 v8, 16, v6
	s_delay_alu instid0(VALU_DEP_1) | instskip(SKIP_1) | instid1(VALU_DEP_2)
	v_mul_f16_e32 v9, v7, v8
	v_mul_f16_e32 v8, v4, v8
	v_fmac_f16_e32 v9, v4, v6
	s_delay_alu instid0(VALU_DEP_2) | instskip(NEXT) | instid1(VALU_DEP_2)
	v_fma_f16 v4, v6, v7, -v8
	v_cvt_f32_f16_e32 v6, v9
	s_delay_alu instid0(VALU_DEP_2) | instskip(NEXT) | instid1(VALU_DEP_2)
	v_cvt_f32_f16_e32 v4, v4
	v_cvt_f64_f32_e32 v[6:7], v6
	s_delay_alu instid0(VALU_DEP_2) | instskip(NEXT) | instid1(VALU_DEP_2)
	v_cvt_f64_f32_e32 v[8:9], v4
	v_mul_f64_e32 v[6:7], s[8:9], v[6:7]
	s_delay_alu instid0(VALU_DEP_2) | instskip(NEXT) | instid1(VALU_DEP_2)
	v_mul_f64_e32 v[8:9], s[8:9], v[8:9]
	v_and_or_b32 v4, 0x1ff, v7, v6
	s_delay_alu instid0(VALU_DEP_2)
	v_and_or_b32 v8, 0x1ff, v9, v8
	v_lshrrev_b32_e32 v6, 8, v7
	v_bfe_u32 v10, v7, 20, 11
	v_lshrrev_b32_e32 v11, 8, v9
	v_cmp_ne_u32_e32 vcc_lo, 0, v4
	v_bfe_u32 v12, v9, 20, 11
	v_lshrrev_b32_e32 v7, 16, v7
	v_sub_nc_u32_e32 v13, 0x3f1, v10
	v_add_nc_u32_e32 v10, 0xfffffc10, v10
	s_wait_alu 0xfffd
	v_cndmask_b32_e64 v4, 0, 1, vcc_lo
	v_cmp_ne_u32_e32 vcc_lo, 0, v8
	v_lshrrev_b32_e32 v9, 16, v9
	s_delay_alu instid0(VALU_DEP_3) | instskip(SKIP_4) | instid1(VALU_DEP_3)
	v_and_or_b32 v4, 0xffe, v6, v4
	s_wait_alu 0xfffd
	v_cndmask_b32_e64 v8, 0, 1, vcc_lo
	v_sub_nc_u32_e32 v6, 0x3f1, v12
	v_add_nc_u32_e32 v12, 0xfffffc10, v12
	v_and_or_b32 v8, 0xffe, v11, v8
	v_med3_i32 v11, v13, 0, 13
	v_or_b32_e32 v13, 0x1000, v4
	v_med3_i32 v6, v6, 0, 13
	s_delay_alu instid0(VALU_DEP_4) | instskip(NEXT) | instid1(VALU_DEP_3)
	v_or_b32_e32 v14, 0x1000, v8
	v_lshrrev_b32_e32 v15, v11, v13
	s_delay_alu instid0(VALU_DEP_2) | instskip(NEXT) | instid1(VALU_DEP_2)
	v_lshrrev_b32_e32 v16, v6, v14
	v_lshlrev_b32_e32 v11, v11, v15
	s_delay_alu instid0(VALU_DEP_2) | instskip(NEXT) | instid1(VALU_DEP_2)
	v_lshlrev_b32_e32 v6, v6, v16
	v_cmp_ne_u32_e32 vcc_lo, v11, v13
	v_lshl_or_b32 v13, v10, 12, v4
	s_wait_alu 0xfffd
	v_cndmask_b32_e64 v11, 0, 1, vcc_lo
	v_cmp_ne_u32_e32 vcc_lo, v6, v14
	v_lshl_or_b32 v14, v12, 12, v8
	s_delay_alu instid0(VALU_DEP_3) | instskip(SKIP_3) | instid1(VALU_DEP_2)
	v_or_b32_e32 v11, v15, v11
	s_wait_alu 0xfffd
	v_cndmask_b32_e64 v6, 0, 1, vcc_lo
	v_cmp_gt_i32_e32 vcc_lo, 1, v10
	v_or_b32_e32 v6, v16, v6
	s_wait_alu 0xfffd
	v_cndmask_b32_e32 v11, v13, v11, vcc_lo
	v_cmp_gt_i32_e32 vcc_lo, 1, v12
	s_wait_alu 0xfffd
	s_delay_alu instid0(VALU_DEP_2) | instskip(SKIP_2) | instid1(VALU_DEP_3)
	v_dual_cndmask_b32 v6, v14, v6 :: v_dual_and_b32 v13, 7, v11
	v_cmp_ne_u32_e32 vcc_lo, 0, v4
	v_lshrrev_b32_e32 v11, 2, v11
	v_cmp_eq_u32_e64 s0, 3, v13
	s_delay_alu instid0(VALU_DEP_4)
	v_and_b32_e32 v14, 7, v6
	s_wait_alu 0xfffd
	v_cndmask_b32_e64 v4, 0, 1, vcc_lo
	v_cmp_ne_u32_e32 vcc_lo, 0, v8
	v_lshrrev_b32_e32 v6, 2, v6
	v_cmp_lt_i32_e64 s1, 5, v14
	v_cmp_eq_u32_e64 s2, 3, v14
	s_wait_alu 0xfffd
	v_cndmask_b32_e64 v8, 0, 1, vcc_lo
	v_cmp_lt_i32_e32 vcc_lo, 5, v13
	v_lshl_or_b32 v4, v4, 9, 0x7c00
	s_delay_alu instid0(VALU_DEP_3)
	v_lshl_or_b32 v8, v8, 9, 0x7c00
	s_or_b32 vcc_lo, s0, vcc_lo
	s_wait_alu 0xfffe
	v_add_co_ci_u32_e32 v11, vcc_lo, 0, v11, vcc_lo
	s_or_b32 vcc_lo, s2, s1
	s_wait_alu 0xfffe
	v_add_co_ci_u32_e32 v6, vcc_lo, 0, v6, vcc_lo
	v_cmp_gt_i32_e32 vcc_lo, 31, v10
	s_wait_alu 0xfffd
	v_cndmask_b32_e32 v11, 0x7c00, v11, vcc_lo
	v_cmp_gt_i32_e32 vcc_lo, 31, v12
	s_wait_alu 0xfffd
	v_cndmask_b32_e32 v6, 0x7c00, v6, vcc_lo
	v_cmp_eq_u32_e32 vcc_lo, 0x40f, v10
	s_wait_alu 0xfffd
	v_cndmask_b32_e32 v4, v11, v4, vcc_lo
	v_cmp_eq_u32_e32 vcc_lo, 0x40f, v12
	s_delay_alu instid0(VALU_DEP_2)
	v_and_or_b32 v4, 0x8000, v7, v4
	s_wait_alu 0xfffd
	v_cndmask_b32_e32 v6, v6, v8, vcc_lo
	v_add_co_u32 v2, vcc_lo, v2, s6
	s_wait_alu 0xfffd
	v_add_co_ci_u32_e32 v3, vcc_lo, s7, v3, vcc_lo
	s_delay_alu instid0(VALU_DEP_3) | instskip(SKIP_1) | instid1(VALU_DEP_1)
	v_and_or_b32 v6, 0x8000, v9, v6
	v_and_b32_e32 v4, 0xffff, v4
	v_lshl_or_b32 v4, v6, 16, v4
	v_lshrrev_b32_e32 v6, 16, v5
	global_store_b32 v[2:3], v4, off
	global_load_b32 v4, v30, s[12:13] offset:416
	s_wait_loadcnt 0x0
	v_lshrrev_b32_e32 v7, 16, v4
	s_delay_alu instid0(VALU_DEP_1) | instskip(SKIP_1) | instid1(VALU_DEP_2)
	v_mul_f16_e32 v8, v6, v7
	v_mul_f16_e32 v7, v5, v7
	v_fmac_f16_e32 v8, v5, v4
	s_delay_alu instid0(VALU_DEP_2) | instskip(NEXT) | instid1(VALU_DEP_2)
	v_fma_f16 v4, v4, v6, -v7
	v_cvt_f32_f16_e32 v5, v8
	s_delay_alu instid0(VALU_DEP_2) | instskip(NEXT) | instid1(VALU_DEP_2)
	v_cvt_f32_f16_e32 v6, v4
	v_cvt_f64_f32_e32 v[4:5], v5
	s_delay_alu instid0(VALU_DEP_2) | instskip(NEXT) | instid1(VALU_DEP_2)
	v_cvt_f64_f32_e32 v[6:7], v6
	v_mul_f64_e32 v[4:5], s[8:9], v[4:5]
	s_delay_alu instid0(VALU_DEP_2) | instskip(NEXT) | instid1(VALU_DEP_2)
	v_mul_f64_e32 v[6:7], s[8:9], v[6:7]
	v_and_or_b32 v4, 0x1ff, v5, v4
	s_delay_alu instid0(VALU_DEP_2)
	v_and_or_b32 v6, 0x1ff, v7, v6
	v_lshrrev_b32_e32 v8, 8, v5
	v_bfe_u32 v9, v5, 20, 11
	v_lshrrev_b32_e32 v10, 8, v7
	v_cmp_ne_u32_e32 vcc_lo, 0, v4
	v_bfe_u32 v11, v7, 20, 11
	v_lshrrev_b32_e32 v5, 16, v5
	v_sub_nc_u32_e32 v12, 0x3f1, v9
	v_add_nc_u32_e32 v9, 0xfffffc10, v9
	s_wait_alu 0xfffd
	v_cndmask_b32_e64 v4, 0, 1, vcc_lo
	v_cmp_ne_u32_e32 vcc_lo, 0, v6
	v_lshrrev_b32_e32 v7, 16, v7
	s_delay_alu instid0(VALU_DEP_3) | instskip(SKIP_4) | instid1(VALU_DEP_3)
	v_and_or_b32 v4, 0xffe, v8, v4
	s_wait_alu 0xfffd
	v_cndmask_b32_e64 v6, 0, 1, vcc_lo
	v_sub_nc_u32_e32 v8, 0x3f1, v11
	v_add_nc_u32_e32 v11, 0xfffffc10, v11
	v_and_or_b32 v6, 0xffe, v10, v6
	v_med3_i32 v10, v12, 0, 13
	v_or_b32_e32 v12, 0x1000, v4
	v_med3_i32 v8, v8, 0, 13
	s_delay_alu instid0(VALU_DEP_4) | instskip(NEXT) | instid1(VALU_DEP_3)
	v_or_b32_e32 v13, 0x1000, v6
	v_lshrrev_b32_e32 v14, v10, v12
	s_delay_alu instid0(VALU_DEP_2) | instskip(NEXT) | instid1(VALU_DEP_2)
	v_lshrrev_b32_e32 v15, v8, v13
	v_lshlrev_b32_e32 v10, v10, v14
	s_delay_alu instid0(VALU_DEP_2) | instskip(NEXT) | instid1(VALU_DEP_2)
	v_lshlrev_b32_e32 v8, v8, v15
	v_cmp_ne_u32_e32 vcc_lo, v10, v12
	v_lshl_or_b32 v12, v9, 12, v4
	s_wait_alu 0xfffd
	v_cndmask_b32_e64 v10, 0, 1, vcc_lo
	v_cmp_ne_u32_e32 vcc_lo, v8, v13
	v_lshl_or_b32 v13, v11, 12, v6
	s_delay_alu instid0(VALU_DEP_3) | instskip(SKIP_3) | instid1(VALU_DEP_2)
	v_or_b32_e32 v10, v14, v10
	s_wait_alu 0xfffd
	v_cndmask_b32_e64 v8, 0, 1, vcc_lo
	v_cmp_gt_i32_e32 vcc_lo, 1, v9
	v_or_b32_e32 v8, v15, v8
	s_wait_alu 0xfffd
	v_cndmask_b32_e32 v10, v12, v10, vcc_lo
	v_cmp_gt_i32_e32 vcc_lo, 1, v11
	s_delay_alu instid0(VALU_DEP_2)
	v_and_b32_e32 v12, 7, v10
	s_wait_alu 0xfffd
	v_cndmask_b32_e32 v8, v13, v8, vcc_lo
	v_cmp_ne_u32_e32 vcc_lo, 0, v4
	v_lshrrev_b32_e32 v10, 2, v10
	v_cmp_eq_u32_e64 s0, 3, v12
	s_delay_alu instid0(VALU_DEP_4)
	v_and_b32_e32 v13, 7, v8
	s_wait_alu 0xfffd
	v_cndmask_b32_e64 v4, 0, 1, vcc_lo
	v_cmp_ne_u32_e32 vcc_lo, 0, v6
	v_lshrrev_b32_e32 v8, 2, v8
	v_cmp_lt_i32_e64 s1, 5, v13
	v_cmp_eq_u32_e64 s2, 3, v13
	s_wait_alu 0xfffd
	v_cndmask_b32_e64 v6, 0, 1, vcc_lo
	v_cmp_lt_i32_e32 vcc_lo, 5, v12
	v_lshl_or_b32 v4, v4, 9, 0x7c00
	s_delay_alu instid0(VALU_DEP_3)
	v_lshl_or_b32 v6, v6, 9, 0x7c00
	s_or_b32 vcc_lo, s0, vcc_lo
	s_wait_alu 0xfffe
	v_add_co_ci_u32_e32 v10, vcc_lo, 0, v10, vcc_lo
	s_or_b32 vcc_lo, s2, s1
	s_wait_alu 0xfffe
	v_add_co_ci_u32_e32 v8, vcc_lo, 0, v8, vcc_lo
	v_cmp_gt_i32_e32 vcc_lo, 31, v9
	s_wait_alu 0xfffd
	v_cndmask_b32_e32 v10, 0x7c00, v10, vcc_lo
	v_cmp_gt_i32_e32 vcc_lo, 31, v11
	s_wait_alu 0xfffd
	v_cndmask_b32_e32 v8, 0x7c00, v8, vcc_lo
	v_cmp_eq_u32_e32 vcc_lo, 0x40f, v9
	s_wait_alu 0xfffd
	v_cndmask_b32_e32 v4, v10, v4, vcc_lo
	v_cmp_eq_u32_e32 vcc_lo, 0x40f, v11
	s_delay_alu instid0(VALU_DEP_2)
	v_and_or_b32 v4, 0x8000, v5, v4
	s_wait_alu 0xfffd
	v_cndmask_b32_e32 v6, v8, v6, vcc_lo
	v_add_co_u32 v2, vcc_lo, v2, s6
	s_wait_alu 0xfffd
	v_add_co_ci_u32_e32 v3, vcc_lo, s7, v3, vcc_lo
	s_delay_alu instid0(VALU_DEP_3) | instskip(SKIP_1) | instid1(VALU_DEP_1)
	v_and_or_b32 v5, 0x8000, v7, v6
	v_and_b32_e32 v4, 0xffff, v4
	v_lshl_or_b32 v4, v5, 16, v4
	global_store_b32 v[2:3], v4, off
	global_load_b32 v6, v30, s[12:13] offset:468
	ds_load_2addr_b32 v[4:5], v33 offset0:117 offset1:130
	s_wait_dscnt 0x0
	v_lshrrev_b32_e32 v7, 16, v4
	s_wait_loadcnt 0x0
	v_lshrrev_b32_e32 v8, 16, v6
	s_delay_alu instid0(VALU_DEP_1) | instskip(SKIP_1) | instid1(VALU_DEP_2)
	v_mul_f16_e32 v9, v7, v8
	v_mul_f16_e32 v8, v4, v8
	v_fmac_f16_e32 v9, v4, v6
	s_delay_alu instid0(VALU_DEP_2) | instskip(NEXT) | instid1(VALU_DEP_2)
	v_fma_f16 v4, v6, v7, -v8
	v_cvt_f32_f16_e32 v6, v9
	s_delay_alu instid0(VALU_DEP_2) | instskip(NEXT) | instid1(VALU_DEP_2)
	v_cvt_f32_f16_e32 v4, v4
	v_cvt_f64_f32_e32 v[6:7], v6
	s_delay_alu instid0(VALU_DEP_2) | instskip(NEXT) | instid1(VALU_DEP_2)
	v_cvt_f64_f32_e32 v[8:9], v4
	v_mul_f64_e32 v[6:7], s[8:9], v[6:7]
	s_delay_alu instid0(VALU_DEP_2) | instskip(NEXT) | instid1(VALU_DEP_2)
	v_mul_f64_e32 v[8:9], s[8:9], v[8:9]
	v_and_or_b32 v4, 0x1ff, v7, v6
	s_delay_alu instid0(VALU_DEP_2)
	v_and_or_b32 v8, 0x1ff, v9, v8
	v_lshrrev_b32_e32 v6, 8, v7
	v_bfe_u32 v10, v7, 20, 11
	v_lshrrev_b32_e32 v11, 8, v9
	v_cmp_ne_u32_e32 vcc_lo, 0, v4
	v_bfe_u32 v12, v9, 20, 11
	v_lshrrev_b32_e32 v7, 16, v7
	v_sub_nc_u32_e32 v13, 0x3f1, v10
	v_add_nc_u32_e32 v10, 0xfffffc10, v10
	s_wait_alu 0xfffd
	v_cndmask_b32_e64 v4, 0, 1, vcc_lo
	v_cmp_ne_u32_e32 vcc_lo, 0, v8
	v_lshrrev_b32_e32 v9, 16, v9
	s_delay_alu instid0(VALU_DEP_3) | instskip(SKIP_4) | instid1(VALU_DEP_3)
	v_and_or_b32 v4, 0xffe, v6, v4
	s_wait_alu 0xfffd
	v_cndmask_b32_e64 v8, 0, 1, vcc_lo
	v_sub_nc_u32_e32 v6, 0x3f1, v12
	v_add_nc_u32_e32 v12, 0xfffffc10, v12
	v_and_or_b32 v8, 0xffe, v11, v8
	v_med3_i32 v11, v13, 0, 13
	v_or_b32_e32 v13, 0x1000, v4
	v_med3_i32 v6, v6, 0, 13
	s_delay_alu instid0(VALU_DEP_4) | instskip(NEXT) | instid1(VALU_DEP_3)
	v_or_b32_e32 v14, 0x1000, v8
	v_lshrrev_b32_e32 v15, v11, v13
	s_delay_alu instid0(VALU_DEP_2) | instskip(NEXT) | instid1(VALU_DEP_2)
	v_lshrrev_b32_e32 v16, v6, v14
	v_lshlrev_b32_e32 v11, v11, v15
	s_delay_alu instid0(VALU_DEP_2) | instskip(NEXT) | instid1(VALU_DEP_2)
	v_lshlrev_b32_e32 v6, v6, v16
	v_cmp_ne_u32_e32 vcc_lo, v11, v13
	v_lshl_or_b32 v13, v10, 12, v4
	s_wait_alu 0xfffd
	v_cndmask_b32_e64 v11, 0, 1, vcc_lo
	v_cmp_ne_u32_e32 vcc_lo, v6, v14
	v_lshl_or_b32 v14, v12, 12, v8
	s_delay_alu instid0(VALU_DEP_3) | instskip(SKIP_3) | instid1(VALU_DEP_2)
	v_or_b32_e32 v11, v15, v11
	s_wait_alu 0xfffd
	v_cndmask_b32_e64 v6, 0, 1, vcc_lo
	v_cmp_gt_i32_e32 vcc_lo, 1, v10
	v_or_b32_e32 v6, v16, v6
	s_wait_alu 0xfffd
	v_cndmask_b32_e32 v11, v13, v11, vcc_lo
	v_cmp_gt_i32_e32 vcc_lo, 1, v12
	s_wait_alu 0xfffd
	s_delay_alu instid0(VALU_DEP_2) | instskip(SKIP_2) | instid1(VALU_DEP_3)
	v_dual_cndmask_b32 v6, v14, v6 :: v_dual_and_b32 v13, 7, v11
	v_cmp_ne_u32_e32 vcc_lo, 0, v4
	v_lshrrev_b32_e32 v11, 2, v11
	v_cmp_eq_u32_e64 s0, 3, v13
	s_delay_alu instid0(VALU_DEP_4)
	v_and_b32_e32 v14, 7, v6
	s_wait_alu 0xfffd
	v_cndmask_b32_e64 v4, 0, 1, vcc_lo
	v_cmp_ne_u32_e32 vcc_lo, 0, v8
	v_lshrrev_b32_e32 v6, 2, v6
	v_cmp_lt_i32_e64 s1, 5, v14
	v_cmp_eq_u32_e64 s2, 3, v14
	s_wait_alu 0xfffd
	v_cndmask_b32_e64 v8, 0, 1, vcc_lo
	v_cmp_lt_i32_e32 vcc_lo, 5, v13
	v_lshl_or_b32 v4, v4, 9, 0x7c00
	s_delay_alu instid0(VALU_DEP_3)
	v_lshl_or_b32 v8, v8, 9, 0x7c00
	s_or_b32 vcc_lo, s0, vcc_lo
	s_wait_alu 0xfffe
	v_add_co_ci_u32_e32 v11, vcc_lo, 0, v11, vcc_lo
	s_or_b32 vcc_lo, s2, s1
	s_wait_alu 0xfffe
	v_add_co_ci_u32_e32 v6, vcc_lo, 0, v6, vcc_lo
	v_cmp_gt_i32_e32 vcc_lo, 31, v10
	s_wait_alu 0xfffd
	v_cndmask_b32_e32 v11, 0x7c00, v11, vcc_lo
	v_cmp_gt_i32_e32 vcc_lo, 31, v12
	s_wait_alu 0xfffd
	v_cndmask_b32_e32 v6, 0x7c00, v6, vcc_lo
	v_cmp_eq_u32_e32 vcc_lo, 0x40f, v10
	s_wait_alu 0xfffd
	v_cndmask_b32_e32 v4, v11, v4, vcc_lo
	v_cmp_eq_u32_e32 vcc_lo, 0x40f, v12
	s_delay_alu instid0(VALU_DEP_2)
	v_and_or_b32 v4, 0x8000, v7, v4
	s_wait_alu 0xfffd
	v_cndmask_b32_e32 v6, v6, v8, vcc_lo
	v_add_co_u32 v2, vcc_lo, v2, s6
	s_wait_alu 0xfffd
	v_add_co_ci_u32_e32 v3, vcc_lo, s7, v3, vcc_lo
	s_delay_alu instid0(VALU_DEP_3) | instskip(SKIP_1) | instid1(VALU_DEP_1)
	v_and_or_b32 v6, 0x8000, v9, v6
	v_and_b32_e32 v4, 0xffff, v4
	v_lshl_or_b32 v4, v6, 16, v4
	v_lshrrev_b32_e32 v6, 16, v5
	global_store_b32 v[2:3], v4, off
	global_load_b32 v4, v30, s[12:13] offset:520
	s_wait_loadcnt 0x0
	v_lshrrev_b32_e32 v7, 16, v4
	s_delay_alu instid0(VALU_DEP_1) | instskip(SKIP_1) | instid1(VALU_DEP_2)
	v_mul_f16_e32 v8, v6, v7
	v_mul_f16_e32 v7, v5, v7
	v_fmac_f16_e32 v8, v5, v4
	s_delay_alu instid0(VALU_DEP_2) | instskip(NEXT) | instid1(VALU_DEP_2)
	v_fma_f16 v4, v4, v6, -v7
	v_cvt_f32_f16_e32 v5, v8
	s_delay_alu instid0(VALU_DEP_2) | instskip(NEXT) | instid1(VALU_DEP_2)
	v_cvt_f32_f16_e32 v6, v4
	v_cvt_f64_f32_e32 v[4:5], v5
	s_delay_alu instid0(VALU_DEP_2) | instskip(NEXT) | instid1(VALU_DEP_2)
	v_cvt_f64_f32_e32 v[6:7], v6
	v_mul_f64_e32 v[4:5], s[8:9], v[4:5]
	s_delay_alu instid0(VALU_DEP_2) | instskip(NEXT) | instid1(VALU_DEP_2)
	v_mul_f64_e32 v[6:7], s[8:9], v[6:7]
	v_and_or_b32 v4, 0x1ff, v5, v4
	s_delay_alu instid0(VALU_DEP_2)
	v_and_or_b32 v6, 0x1ff, v7, v6
	v_lshrrev_b32_e32 v8, 8, v5
	v_bfe_u32 v9, v5, 20, 11
	v_lshrrev_b32_e32 v10, 8, v7
	v_cmp_ne_u32_e32 vcc_lo, 0, v4
	v_bfe_u32 v11, v7, 20, 11
	v_lshrrev_b32_e32 v5, 16, v5
	v_sub_nc_u32_e32 v12, 0x3f1, v9
	v_add_nc_u32_e32 v9, 0xfffffc10, v9
	s_wait_alu 0xfffd
	v_cndmask_b32_e64 v4, 0, 1, vcc_lo
	v_cmp_ne_u32_e32 vcc_lo, 0, v6
	v_lshrrev_b32_e32 v7, 16, v7
	s_delay_alu instid0(VALU_DEP_3) | instskip(SKIP_4) | instid1(VALU_DEP_3)
	v_and_or_b32 v4, 0xffe, v8, v4
	s_wait_alu 0xfffd
	v_cndmask_b32_e64 v6, 0, 1, vcc_lo
	v_sub_nc_u32_e32 v8, 0x3f1, v11
	v_add_nc_u32_e32 v11, 0xfffffc10, v11
	v_and_or_b32 v6, 0xffe, v10, v6
	v_med3_i32 v10, v12, 0, 13
	v_or_b32_e32 v12, 0x1000, v4
	v_med3_i32 v8, v8, 0, 13
	s_delay_alu instid0(VALU_DEP_4) | instskip(NEXT) | instid1(VALU_DEP_3)
	v_or_b32_e32 v13, 0x1000, v6
	v_lshrrev_b32_e32 v14, v10, v12
	s_delay_alu instid0(VALU_DEP_2) | instskip(NEXT) | instid1(VALU_DEP_2)
	v_lshrrev_b32_e32 v15, v8, v13
	v_lshlrev_b32_e32 v10, v10, v14
	s_delay_alu instid0(VALU_DEP_2) | instskip(NEXT) | instid1(VALU_DEP_2)
	v_lshlrev_b32_e32 v8, v8, v15
	v_cmp_ne_u32_e32 vcc_lo, v10, v12
	v_lshl_or_b32 v12, v9, 12, v4
	s_wait_alu 0xfffd
	v_cndmask_b32_e64 v10, 0, 1, vcc_lo
	v_cmp_ne_u32_e32 vcc_lo, v8, v13
	v_lshl_or_b32 v13, v11, 12, v6
	s_delay_alu instid0(VALU_DEP_3) | instskip(SKIP_3) | instid1(VALU_DEP_2)
	v_or_b32_e32 v10, v14, v10
	s_wait_alu 0xfffd
	v_cndmask_b32_e64 v8, 0, 1, vcc_lo
	v_cmp_gt_i32_e32 vcc_lo, 1, v9
	v_or_b32_e32 v8, v15, v8
	s_wait_alu 0xfffd
	v_cndmask_b32_e32 v10, v12, v10, vcc_lo
	v_cmp_gt_i32_e32 vcc_lo, 1, v11
	s_delay_alu instid0(VALU_DEP_2)
	v_and_b32_e32 v12, 7, v10
	s_wait_alu 0xfffd
	v_cndmask_b32_e32 v8, v13, v8, vcc_lo
	v_cmp_ne_u32_e32 vcc_lo, 0, v4
	v_lshrrev_b32_e32 v10, 2, v10
	v_cmp_eq_u32_e64 s0, 3, v12
	s_delay_alu instid0(VALU_DEP_4)
	v_and_b32_e32 v13, 7, v8
	s_wait_alu 0xfffd
	v_cndmask_b32_e64 v4, 0, 1, vcc_lo
	v_cmp_ne_u32_e32 vcc_lo, 0, v6
	v_lshrrev_b32_e32 v8, 2, v8
	v_cmp_lt_i32_e64 s1, 5, v13
	v_cmp_eq_u32_e64 s2, 3, v13
	s_wait_alu 0xfffd
	v_cndmask_b32_e64 v6, 0, 1, vcc_lo
	v_cmp_lt_i32_e32 vcc_lo, 5, v12
	v_lshl_or_b32 v4, v4, 9, 0x7c00
	s_delay_alu instid0(VALU_DEP_3)
	v_lshl_or_b32 v6, v6, 9, 0x7c00
	s_or_b32 vcc_lo, s0, vcc_lo
	s_wait_alu 0xfffe
	v_add_co_ci_u32_e32 v10, vcc_lo, 0, v10, vcc_lo
	s_or_b32 vcc_lo, s2, s1
	s_wait_alu 0xfffe
	v_add_co_ci_u32_e32 v8, vcc_lo, 0, v8, vcc_lo
	v_cmp_gt_i32_e32 vcc_lo, 31, v9
	s_wait_alu 0xfffd
	v_cndmask_b32_e32 v10, 0x7c00, v10, vcc_lo
	v_cmp_gt_i32_e32 vcc_lo, 31, v11
	s_wait_alu 0xfffd
	v_cndmask_b32_e32 v8, 0x7c00, v8, vcc_lo
	v_cmp_eq_u32_e32 vcc_lo, 0x40f, v9
	s_wait_alu 0xfffd
	v_cndmask_b32_e32 v4, v10, v4, vcc_lo
	v_cmp_eq_u32_e32 vcc_lo, 0x40f, v11
	s_delay_alu instid0(VALU_DEP_2)
	v_and_or_b32 v4, 0x8000, v5, v4
	s_wait_alu 0xfffd
	v_cndmask_b32_e32 v6, v8, v6, vcc_lo
	v_add_co_u32 v2, vcc_lo, v2, s6
	s_wait_alu 0xfffd
	v_add_co_ci_u32_e32 v3, vcc_lo, s7, v3, vcc_lo
	s_delay_alu instid0(VALU_DEP_3) | instskip(SKIP_1) | instid1(VALU_DEP_1)
	v_and_or_b32 v5, 0x8000, v7, v6
	v_and_b32_e32 v4, 0xffff, v4
	v_lshl_or_b32 v4, v5, 16, v4
	global_store_b32 v[2:3], v4, off
	global_load_b32 v6, v30, s[12:13] offset:572
	ds_load_2addr_b32 v[4:5], v33 offset0:143 offset1:156
	s_wait_dscnt 0x0
	v_lshrrev_b32_e32 v7, 16, v4
	s_wait_loadcnt 0x0
	v_lshrrev_b32_e32 v8, 16, v6
	s_delay_alu instid0(VALU_DEP_1) | instskip(SKIP_1) | instid1(VALU_DEP_2)
	v_mul_f16_e32 v9, v7, v8
	v_mul_f16_e32 v8, v4, v8
	v_fmac_f16_e32 v9, v4, v6
	s_delay_alu instid0(VALU_DEP_2) | instskip(NEXT) | instid1(VALU_DEP_2)
	v_fma_f16 v4, v6, v7, -v8
	v_cvt_f32_f16_e32 v6, v9
	s_delay_alu instid0(VALU_DEP_2) | instskip(NEXT) | instid1(VALU_DEP_2)
	v_cvt_f32_f16_e32 v4, v4
	v_cvt_f64_f32_e32 v[6:7], v6
	s_delay_alu instid0(VALU_DEP_2) | instskip(NEXT) | instid1(VALU_DEP_2)
	v_cvt_f64_f32_e32 v[8:9], v4
	v_mul_f64_e32 v[6:7], s[8:9], v[6:7]
	s_delay_alu instid0(VALU_DEP_2) | instskip(NEXT) | instid1(VALU_DEP_2)
	v_mul_f64_e32 v[8:9], s[8:9], v[8:9]
	v_and_or_b32 v4, 0x1ff, v7, v6
	s_delay_alu instid0(VALU_DEP_2)
	v_and_or_b32 v8, 0x1ff, v9, v8
	v_lshrrev_b32_e32 v6, 8, v7
	v_bfe_u32 v10, v7, 20, 11
	v_lshrrev_b32_e32 v11, 8, v9
	v_cmp_ne_u32_e32 vcc_lo, 0, v4
	v_bfe_u32 v12, v9, 20, 11
	v_lshrrev_b32_e32 v7, 16, v7
	v_sub_nc_u32_e32 v13, 0x3f1, v10
	v_add_nc_u32_e32 v10, 0xfffffc10, v10
	s_wait_alu 0xfffd
	v_cndmask_b32_e64 v4, 0, 1, vcc_lo
	v_cmp_ne_u32_e32 vcc_lo, 0, v8
	v_lshrrev_b32_e32 v9, 16, v9
	s_delay_alu instid0(VALU_DEP_3) | instskip(SKIP_4) | instid1(VALU_DEP_3)
	v_and_or_b32 v4, 0xffe, v6, v4
	s_wait_alu 0xfffd
	v_cndmask_b32_e64 v8, 0, 1, vcc_lo
	v_sub_nc_u32_e32 v6, 0x3f1, v12
	v_add_nc_u32_e32 v12, 0xfffffc10, v12
	v_and_or_b32 v8, 0xffe, v11, v8
	v_med3_i32 v11, v13, 0, 13
	v_or_b32_e32 v13, 0x1000, v4
	v_med3_i32 v6, v6, 0, 13
	s_delay_alu instid0(VALU_DEP_4) | instskip(NEXT) | instid1(VALU_DEP_3)
	v_or_b32_e32 v14, 0x1000, v8
	v_lshrrev_b32_e32 v15, v11, v13
	s_delay_alu instid0(VALU_DEP_2) | instskip(NEXT) | instid1(VALU_DEP_2)
	v_lshrrev_b32_e32 v16, v6, v14
	v_lshlrev_b32_e32 v11, v11, v15
	s_delay_alu instid0(VALU_DEP_2) | instskip(NEXT) | instid1(VALU_DEP_2)
	v_lshlrev_b32_e32 v6, v6, v16
	v_cmp_ne_u32_e32 vcc_lo, v11, v13
	v_lshl_or_b32 v13, v10, 12, v4
	s_wait_alu 0xfffd
	v_cndmask_b32_e64 v11, 0, 1, vcc_lo
	v_cmp_ne_u32_e32 vcc_lo, v6, v14
	v_lshl_or_b32 v14, v12, 12, v8
	s_delay_alu instid0(VALU_DEP_3) | instskip(SKIP_3) | instid1(VALU_DEP_2)
	v_or_b32_e32 v11, v15, v11
	s_wait_alu 0xfffd
	v_cndmask_b32_e64 v6, 0, 1, vcc_lo
	v_cmp_gt_i32_e32 vcc_lo, 1, v10
	v_or_b32_e32 v6, v16, v6
	s_wait_alu 0xfffd
	v_cndmask_b32_e32 v11, v13, v11, vcc_lo
	v_cmp_gt_i32_e32 vcc_lo, 1, v12
	s_wait_alu 0xfffd
	s_delay_alu instid0(VALU_DEP_2) | instskip(SKIP_2) | instid1(VALU_DEP_3)
	v_dual_cndmask_b32 v6, v14, v6 :: v_dual_and_b32 v13, 7, v11
	v_cmp_ne_u32_e32 vcc_lo, 0, v4
	v_lshrrev_b32_e32 v11, 2, v11
	v_cmp_eq_u32_e64 s0, 3, v13
	s_delay_alu instid0(VALU_DEP_4)
	v_and_b32_e32 v14, 7, v6
	s_wait_alu 0xfffd
	v_cndmask_b32_e64 v4, 0, 1, vcc_lo
	v_cmp_ne_u32_e32 vcc_lo, 0, v8
	v_lshrrev_b32_e32 v6, 2, v6
	v_cmp_lt_i32_e64 s1, 5, v14
	v_cmp_eq_u32_e64 s2, 3, v14
	s_wait_alu 0xfffd
	v_cndmask_b32_e64 v8, 0, 1, vcc_lo
	v_cmp_lt_i32_e32 vcc_lo, 5, v13
	v_lshl_or_b32 v4, v4, 9, 0x7c00
	s_delay_alu instid0(VALU_DEP_3)
	v_lshl_or_b32 v8, v8, 9, 0x7c00
	s_or_b32 vcc_lo, s0, vcc_lo
	s_wait_alu 0xfffe
	v_add_co_ci_u32_e32 v11, vcc_lo, 0, v11, vcc_lo
	s_or_b32 vcc_lo, s2, s1
	s_wait_alu 0xfffe
	v_add_co_ci_u32_e32 v6, vcc_lo, 0, v6, vcc_lo
	v_cmp_gt_i32_e32 vcc_lo, 31, v10
	s_wait_alu 0xfffd
	v_cndmask_b32_e32 v11, 0x7c00, v11, vcc_lo
	v_cmp_gt_i32_e32 vcc_lo, 31, v12
	s_wait_alu 0xfffd
	v_cndmask_b32_e32 v6, 0x7c00, v6, vcc_lo
	v_cmp_eq_u32_e32 vcc_lo, 0x40f, v10
	s_wait_alu 0xfffd
	v_cndmask_b32_e32 v4, v11, v4, vcc_lo
	v_cmp_eq_u32_e32 vcc_lo, 0x40f, v12
	s_delay_alu instid0(VALU_DEP_2)
	v_and_or_b32 v4, 0x8000, v7, v4
	s_wait_alu 0xfffd
	v_cndmask_b32_e32 v6, v6, v8, vcc_lo
	v_add_co_u32 v2, vcc_lo, v2, s6
	s_wait_alu 0xfffd
	v_add_co_ci_u32_e32 v3, vcc_lo, s7, v3, vcc_lo
	s_delay_alu instid0(VALU_DEP_3) | instskip(SKIP_1) | instid1(VALU_DEP_1)
	v_and_or_b32 v6, 0x8000, v9, v6
	v_and_b32_e32 v4, 0xffff, v4
	v_lshl_or_b32 v4, v6, 16, v4
	v_lshrrev_b32_e32 v6, 16, v5
	global_store_b32 v[2:3], v4, off
	global_load_b32 v4, v30, s[12:13] offset:624
	s_wait_loadcnt 0x0
	v_lshrrev_b32_e32 v7, 16, v4
	s_delay_alu instid0(VALU_DEP_1) | instskip(SKIP_1) | instid1(VALU_DEP_2)
	v_mul_f16_e32 v8, v6, v7
	v_mul_f16_e32 v7, v5, v7
	v_fmac_f16_e32 v8, v5, v4
	s_delay_alu instid0(VALU_DEP_2) | instskip(NEXT) | instid1(VALU_DEP_2)
	v_fma_f16 v4, v4, v6, -v7
	v_cvt_f32_f16_e32 v5, v8
	s_delay_alu instid0(VALU_DEP_2) | instskip(NEXT) | instid1(VALU_DEP_2)
	v_cvt_f32_f16_e32 v6, v4
	v_cvt_f64_f32_e32 v[4:5], v5
	s_delay_alu instid0(VALU_DEP_2) | instskip(NEXT) | instid1(VALU_DEP_2)
	v_cvt_f64_f32_e32 v[6:7], v6
	v_mul_f64_e32 v[4:5], s[8:9], v[4:5]
	s_delay_alu instid0(VALU_DEP_2) | instskip(NEXT) | instid1(VALU_DEP_2)
	v_mul_f64_e32 v[6:7], s[8:9], v[6:7]
	v_and_or_b32 v4, 0x1ff, v5, v4
	s_delay_alu instid0(VALU_DEP_2)
	v_and_or_b32 v6, 0x1ff, v7, v6
	v_lshrrev_b32_e32 v8, 8, v5
	v_bfe_u32 v9, v5, 20, 11
	v_lshrrev_b32_e32 v10, 8, v7
	v_cmp_ne_u32_e32 vcc_lo, 0, v4
	v_bfe_u32 v11, v7, 20, 11
	v_lshrrev_b32_e32 v5, 16, v5
	v_sub_nc_u32_e32 v12, 0x3f1, v9
	v_add_nc_u32_e32 v9, 0xfffffc10, v9
	s_wait_alu 0xfffd
	v_cndmask_b32_e64 v4, 0, 1, vcc_lo
	v_cmp_ne_u32_e32 vcc_lo, 0, v6
	v_lshrrev_b32_e32 v7, 16, v7
	s_delay_alu instid0(VALU_DEP_3) | instskip(SKIP_4) | instid1(VALU_DEP_3)
	v_and_or_b32 v4, 0xffe, v8, v4
	s_wait_alu 0xfffd
	v_cndmask_b32_e64 v6, 0, 1, vcc_lo
	v_sub_nc_u32_e32 v8, 0x3f1, v11
	v_add_nc_u32_e32 v11, 0xfffffc10, v11
	v_and_or_b32 v6, 0xffe, v10, v6
	v_med3_i32 v10, v12, 0, 13
	v_or_b32_e32 v12, 0x1000, v4
	v_med3_i32 v8, v8, 0, 13
	s_delay_alu instid0(VALU_DEP_4) | instskip(NEXT) | instid1(VALU_DEP_3)
	v_or_b32_e32 v13, 0x1000, v6
	v_lshrrev_b32_e32 v14, v10, v12
	s_delay_alu instid0(VALU_DEP_2) | instskip(NEXT) | instid1(VALU_DEP_2)
	v_lshrrev_b32_e32 v15, v8, v13
	v_lshlrev_b32_e32 v10, v10, v14
	s_delay_alu instid0(VALU_DEP_2) | instskip(NEXT) | instid1(VALU_DEP_2)
	v_lshlrev_b32_e32 v8, v8, v15
	v_cmp_ne_u32_e32 vcc_lo, v10, v12
	v_lshl_or_b32 v12, v9, 12, v4
	s_wait_alu 0xfffd
	v_cndmask_b32_e64 v10, 0, 1, vcc_lo
	v_cmp_ne_u32_e32 vcc_lo, v8, v13
	v_lshl_or_b32 v13, v11, 12, v6
	s_delay_alu instid0(VALU_DEP_3) | instskip(SKIP_3) | instid1(VALU_DEP_2)
	v_or_b32_e32 v10, v14, v10
	s_wait_alu 0xfffd
	v_cndmask_b32_e64 v8, 0, 1, vcc_lo
	v_cmp_gt_i32_e32 vcc_lo, 1, v9
	v_or_b32_e32 v8, v15, v8
	s_wait_alu 0xfffd
	v_cndmask_b32_e32 v10, v12, v10, vcc_lo
	v_cmp_gt_i32_e32 vcc_lo, 1, v11
	s_delay_alu instid0(VALU_DEP_2)
	v_and_b32_e32 v12, 7, v10
	s_wait_alu 0xfffd
	v_cndmask_b32_e32 v8, v13, v8, vcc_lo
	v_cmp_ne_u32_e32 vcc_lo, 0, v4
	v_lshrrev_b32_e32 v10, 2, v10
	v_cmp_eq_u32_e64 s0, 3, v12
	s_delay_alu instid0(VALU_DEP_4)
	v_and_b32_e32 v13, 7, v8
	s_wait_alu 0xfffd
	v_cndmask_b32_e64 v4, 0, 1, vcc_lo
	v_cmp_ne_u32_e32 vcc_lo, 0, v6
	v_lshrrev_b32_e32 v8, 2, v8
	v_cmp_lt_i32_e64 s1, 5, v13
	v_cmp_eq_u32_e64 s2, 3, v13
	s_wait_alu 0xfffd
	v_cndmask_b32_e64 v6, 0, 1, vcc_lo
	v_cmp_lt_i32_e32 vcc_lo, 5, v12
	v_lshl_or_b32 v4, v4, 9, 0x7c00
	s_delay_alu instid0(VALU_DEP_3)
	v_lshl_or_b32 v6, v6, 9, 0x7c00
	s_or_b32 vcc_lo, s0, vcc_lo
	s_wait_alu 0xfffe
	v_add_co_ci_u32_e32 v10, vcc_lo, 0, v10, vcc_lo
	s_or_b32 vcc_lo, s2, s1
	s_wait_alu 0xfffe
	v_add_co_ci_u32_e32 v8, vcc_lo, 0, v8, vcc_lo
	v_cmp_gt_i32_e32 vcc_lo, 31, v9
	s_wait_alu 0xfffd
	v_cndmask_b32_e32 v10, 0x7c00, v10, vcc_lo
	v_cmp_gt_i32_e32 vcc_lo, 31, v11
	s_wait_alu 0xfffd
	v_cndmask_b32_e32 v8, 0x7c00, v8, vcc_lo
	v_cmp_eq_u32_e32 vcc_lo, 0x40f, v9
	s_wait_alu 0xfffd
	v_cndmask_b32_e32 v4, v10, v4, vcc_lo
	v_cmp_eq_u32_e32 vcc_lo, 0x40f, v11
	s_delay_alu instid0(VALU_DEP_2)
	v_and_or_b32 v4, 0x8000, v5, v4
	s_wait_alu 0xfffd
	v_cndmask_b32_e32 v6, v8, v6, vcc_lo
	v_add_co_u32 v2, vcc_lo, v2, s6
	s_wait_alu 0xfffd
	v_add_co_ci_u32_e32 v3, vcc_lo, s7, v3, vcc_lo
	s_delay_alu instid0(VALU_DEP_3) | instskip(SKIP_1) | instid1(VALU_DEP_1)
	v_and_or_b32 v5, 0x8000, v7, v6
	v_and_b32_e32 v4, 0xffff, v4
	v_lshl_or_b32 v4, v5, 16, v4
	global_store_b32 v[2:3], v4, off
	global_load_b32 v6, v30, s[12:13] offset:676
	ds_load_2addr_b32 v[4:5], v33 offset0:169 offset1:182
	s_wait_dscnt 0x0
	v_lshrrev_b32_e32 v7, 16, v4
	s_wait_loadcnt 0x0
	v_lshrrev_b32_e32 v8, 16, v6
	s_delay_alu instid0(VALU_DEP_1) | instskip(SKIP_1) | instid1(VALU_DEP_2)
	v_mul_f16_e32 v9, v7, v8
	v_mul_f16_e32 v8, v4, v8
	v_fmac_f16_e32 v9, v4, v6
	s_delay_alu instid0(VALU_DEP_2) | instskip(NEXT) | instid1(VALU_DEP_2)
	v_fma_f16 v4, v6, v7, -v8
	v_cvt_f32_f16_e32 v6, v9
	s_delay_alu instid0(VALU_DEP_2) | instskip(NEXT) | instid1(VALU_DEP_2)
	v_cvt_f32_f16_e32 v4, v4
	v_cvt_f64_f32_e32 v[6:7], v6
	s_delay_alu instid0(VALU_DEP_2) | instskip(NEXT) | instid1(VALU_DEP_2)
	v_cvt_f64_f32_e32 v[8:9], v4
	v_mul_f64_e32 v[6:7], s[8:9], v[6:7]
	s_delay_alu instid0(VALU_DEP_2) | instskip(NEXT) | instid1(VALU_DEP_2)
	v_mul_f64_e32 v[8:9], s[8:9], v[8:9]
	v_and_or_b32 v4, 0x1ff, v7, v6
	s_delay_alu instid0(VALU_DEP_2)
	v_and_or_b32 v8, 0x1ff, v9, v8
	v_lshrrev_b32_e32 v6, 8, v7
	v_bfe_u32 v10, v7, 20, 11
	v_lshrrev_b32_e32 v11, 8, v9
	v_cmp_ne_u32_e32 vcc_lo, 0, v4
	v_bfe_u32 v12, v9, 20, 11
	v_lshrrev_b32_e32 v7, 16, v7
	v_sub_nc_u32_e32 v13, 0x3f1, v10
	v_add_nc_u32_e32 v10, 0xfffffc10, v10
	s_wait_alu 0xfffd
	v_cndmask_b32_e64 v4, 0, 1, vcc_lo
	v_cmp_ne_u32_e32 vcc_lo, 0, v8
	v_lshrrev_b32_e32 v9, 16, v9
	s_delay_alu instid0(VALU_DEP_3) | instskip(SKIP_4) | instid1(VALU_DEP_3)
	v_and_or_b32 v4, 0xffe, v6, v4
	s_wait_alu 0xfffd
	v_cndmask_b32_e64 v8, 0, 1, vcc_lo
	v_sub_nc_u32_e32 v6, 0x3f1, v12
	v_add_nc_u32_e32 v12, 0xfffffc10, v12
	v_and_or_b32 v8, 0xffe, v11, v8
	v_med3_i32 v11, v13, 0, 13
	v_or_b32_e32 v13, 0x1000, v4
	v_med3_i32 v6, v6, 0, 13
	s_delay_alu instid0(VALU_DEP_4) | instskip(NEXT) | instid1(VALU_DEP_3)
	v_or_b32_e32 v14, 0x1000, v8
	v_lshrrev_b32_e32 v15, v11, v13
	s_delay_alu instid0(VALU_DEP_2) | instskip(NEXT) | instid1(VALU_DEP_2)
	v_lshrrev_b32_e32 v16, v6, v14
	v_lshlrev_b32_e32 v11, v11, v15
	s_delay_alu instid0(VALU_DEP_2) | instskip(NEXT) | instid1(VALU_DEP_2)
	v_lshlrev_b32_e32 v6, v6, v16
	v_cmp_ne_u32_e32 vcc_lo, v11, v13
	v_lshl_or_b32 v13, v10, 12, v4
	s_wait_alu 0xfffd
	v_cndmask_b32_e64 v11, 0, 1, vcc_lo
	v_cmp_ne_u32_e32 vcc_lo, v6, v14
	v_lshl_or_b32 v14, v12, 12, v8
	s_delay_alu instid0(VALU_DEP_3) | instskip(SKIP_3) | instid1(VALU_DEP_2)
	v_or_b32_e32 v11, v15, v11
	s_wait_alu 0xfffd
	v_cndmask_b32_e64 v6, 0, 1, vcc_lo
	v_cmp_gt_i32_e32 vcc_lo, 1, v10
	v_or_b32_e32 v6, v16, v6
	s_wait_alu 0xfffd
	v_cndmask_b32_e32 v11, v13, v11, vcc_lo
	v_cmp_gt_i32_e32 vcc_lo, 1, v12
	s_wait_alu 0xfffd
	s_delay_alu instid0(VALU_DEP_2) | instskip(SKIP_2) | instid1(VALU_DEP_3)
	v_dual_cndmask_b32 v6, v14, v6 :: v_dual_and_b32 v13, 7, v11
	v_cmp_ne_u32_e32 vcc_lo, 0, v4
	v_lshrrev_b32_e32 v11, 2, v11
	v_cmp_eq_u32_e64 s0, 3, v13
	s_delay_alu instid0(VALU_DEP_4)
	v_and_b32_e32 v14, 7, v6
	s_wait_alu 0xfffd
	v_cndmask_b32_e64 v4, 0, 1, vcc_lo
	v_cmp_ne_u32_e32 vcc_lo, 0, v8
	v_lshrrev_b32_e32 v6, 2, v6
	v_cmp_lt_i32_e64 s1, 5, v14
	v_cmp_eq_u32_e64 s2, 3, v14
	s_wait_alu 0xfffd
	v_cndmask_b32_e64 v8, 0, 1, vcc_lo
	v_cmp_lt_i32_e32 vcc_lo, 5, v13
	v_lshl_or_b32 v4, v4, 9, 0x7c00
	s_delay_alu instid0(VALU_DEP_3)
	v_lshl_or_b32 v8, v8, 9, 0x7c00
	s_or_b32 vcc_lo, s0, vcc_lo
	s_wait_alu 0xfffe
	v_add_co_ci_u32_e32 v11, vcc_lo, 0, v11, vcc_lo
	s_or_b32 vcc_lo, s2, s1
	s_wait_alu 0xfffe
	v_add_co_ci_u32_e32 v6, vcc_lo, 0, v6, vcc_lo
	v_cmp_gt_i32_e32 vcc_lo, 31, v10
	s_wait_alu 0xfffd
	v_cndmask_b32_e32 v11, 0x7c00, v11, vcc_lo
	v_cmp_gt_i32_e32 vcc_lo, 31, v12
	s_wait_alu 0xfffd
	v_cndmask_b32_e32 v6, 0x7c00, v6, vcc_lo
	v_cmp_eq_u32_e32 vcc_lo, 0x40f, v10
	s_wait_alu 0xfffd
	v_cndmask_b32_e32 v4, v11, v4, vcc_lo
	v_cmp_eq_u32_e32 vcc_lo, 0x40f, v12
	s_delay_alu instid0(VALU_DEP_2)
	v_and_or_b32 v4, 0x8000, v7, v4
	s_wait_alu 0xfffd
	v_cndmask_b32_e32 v6, v6, v8, vcc_lo
	v_add_co_u32 v2, vcc_lo, v2, s6
	s_wait_alu 0xfffd
	v_add_co_ci_u32_e32 v3, vcc_lo, s7, v3, vcc_lo
	s_delay_alu instid0(VALU_DEP_3) | instskip(SKIP_1) | instid1(VALU_DEP_1)
	v_and_or_b32 v6, 0x8000, v9, v6
	v_and_b32_e32 v4, 0xffff, v4
	v_lshl_or_b32 v4, v6, 16, v4
	v_lshrrev_b32_e32 v6, 16, v5
	global_store_b32 v[2:3], v4, off
	global_load_b32 v4, v30, s[12:13] offset:728
	s_wait_loadcnt 0x0
	v_lshrrev_b32_e32 v7, 16, v4
	s_delay_alu instid0(VALU_DEP_1) | instskip(SKIP_1) | instid1(VALU_DEP_2)
	v_mul_f16_e32 v8, v6, v7
	v_mul_f16_e32 v7, v5, v7
	v_fmac_f16_e32 v8, v5, v4
	s_delay_alu instid0(VALU_DEP_2) | instskip(NEXT) | instid1(VALU_DEP_2)
	v_fma_f16 v4, v4, v6, -v7
	v_cvt_f32_f16_e32 v5, v8
	s_delay_alu instid0(VALU_DEP_2) | instskip(NEXT) | instid1(VALU_DEP_2)
	v_cvt_f32_f16_e32 v6, v4
	v_cvt_f64_f32_e32 v[4:5], v5
	s_delay_alu instid0(VALU_DEP_2) | instskip(NEXT) | instid1(VALU_DEP_2)
	v_cvt_f64_f32_e32 v[6:7], v6
	v_mul_f64_e32 v[4:5], s[8:9], v[4:5]
	s_delay_alu instid0(VALU_DEP_2) | instskip(NEXT) | instid1(VALU_DEP_2)
	v_mul_f64_e32 v[6:7], s[8:9], v[6:7]
	v_and_or_b32 v4, 0x1ff, v5, v4
	s_delay_alu instid0(VALU_DEP_2)
	v_and_or_b32 v6, 0x1ff, v7, v6
	v_lshrrev_b32_e32 v8, 8, v5
	v_bfe_u32 v9, v5, 20, 11
	v_lshrrev_b32_e32 v10, 8, v7
	v_cmp_ne_u32_e32 vcc_lo, 0, v4
	v_bfe_u32 v11, v7, 20, 11
	v_lshrrev_b32_e32 v5, 16, v5
	v_sub_nc_u32_e32 v12, 0x3f1, v9
	v_add_nc_u32_e32 v9, 0xfffffc10, v9
	s_wait_alu 0xfffd
	v_cndmask_b32_e64 v4, 0, 1, vcc_lo
	v_cmp_ne_u32_e32 vcc_lo, 0, v6
	v_lshrrev_b32_e32 v7, 16, v7
	s_delay_alu instid0(VALU_DEP_3) | instskip(SKIP_4) | instid1(VALU_DEP_3)
	v_and_or_b32 v4, 0xffe, v8, v4
	s_wait_alu 0xfffd
	v_cndmask_b32_e64 v6, 0, 1, vcc_lo
	v_sub_nc_u32_e32 v8, 0x3f1, v11
	v_add_nc_u32_e32 v11, 0xfffffc10, v11
	v_and_or_b32 v6, 0xffe, v10, v6
	v_med3_i32 v10, v12, 0, 13
	v_or_b32_e32 v12, 0x1000, v4
	v_med3_i32 v8, v8, 0, 13
	s_delay_alu instid0(VALU_DEP_4) | instskip(NEXT) | instid1(VALU_DEP_3)
	v_or_b32_e32 v13, 0x1000, v6
	v_lshrrev_b32_e32 v14, v10, v12
	s_delay_alu instid0(VALU_DEP_2) | instskip(NEXT) | instid1(VALU_DEP_2)
	v_lshrrev_b32_e32 v15, v8, v13
	v_lshlrev_b32_e32 v10, v10, v14
	s_delay_alu instid0(VALU_DEP_2) | instskip(NEXT) | instid1(VALU_DEP_2)
	v_lshlrev_b32_e32 v8, v8, v15
	v_cmp_ne_u32_e32 vcc_lo, v10, v12
	v_lshl_or_b32 v12, v9, 12, v4
	s_wait_alu 0xfffd
	v_cndmask_b32_e64 v10, 0, 1, vcc_lo
	v_cmp_ne_u32_e32 vcc_lo, v8, v13
	v_lshl_or_b32 v13, v11, 12, v6
	s_delay_alu instid0(VALU_DEP_3) | instskip(SKIP_3) | instid1(VALU_DEP_2)
	v_or_b32_e32 v10, v14, v10
	s_wait_alu 0xfffd
	v_cndmask_b32_e64 v8, 0, 1, vcc_lo
	v_cmp_gt_i32_e32 vcc_lo, 1, v9
	v_or_b32_e32 v8, v15, v8
	s_wait_alu 0xfffd
	v_cndmask_b32_e32 v10, v12, v10, vcc_lo
	v_cmp_gt_i32_e32 vcc_lo, 1, v11
	s_delay_alu instid0(VALU_DEP_2)
	v_and_b32_e32 v12, 7, v10
	s_wait_alu 0xfffd
	v_cndmask_b32_e32 v8, v13, v8, vcc_lo
	v_cmp_ne_u32_e32 vcc_lo, 0, v4
	v_lshrrev_b32_e32 v10, 2, v10
	v_cmp_eq_u32_e64 s0, 3, v12
	s_delay_alu instid0(VALU_DEP_4)
	v_and_b32_e32 v13, 7, v8
	s_wait_alu 0xfffd
	v_cndmask_b32_e64 v4, 0, 1, vcc_lo
	v_cmp_ne_u32_e32 vcc_lo, 0, v6
	v_lshrrev_b32_e32 v8, 2, v8
	v_cmp_lt_i32_e64 s1, 5, v13
	v_cmp_eq_u32_e64 s2, 3, v13
	s_wait_alu 0xfffd
	v_cndmask_b32_e64 v6, 0, 1, vcc_lo
	v_cmp_lt_i32_e32 vcc_lo, 5, v12
	v_lshl_or_b32 v4, v4, 9, 0x7c00
	s_delay_alu instid0(VALU_DEP_3)
	v_lshl_or_b32 v6, v6, 9, 0x7c00
	s_or_b32 vcc_lo, s0, vcc_lo
	s_wait_alu 0xfffe
	v_add_co_ci_u32_e32 v10, vcc_lo, 0, v10, vcc_lo
	s_or_b32 vcc_lo, s2, s1
	s_wait_alu 0xfffe
	v_add_co_ci_u32_e32 v8, vcc_lo, 0, v8, vcc_lo
	v_cmp_gt_i32_e32 vcc_lo, 31, v9
	s_wait_alu 0xfffd
	v_cndmask_b32_e32 v10, 0x7c00, v10, vcc_lo
	v_cmp_gt_i32_e32 vcc_lo, 31, v11
	s_wait_alu 0xfffd
	v_cndmask_b32_e32 v8, 0x7c00, v8, vcc_lo
	v_cmp_eq_u32_e32 vcc_lo, 0x40f, v9
	s_wait_alu 0xfffd
	v_cndmask_b32_e32 v4, v10, v4, vcc_lo
	v_cmp_eq_u32_e32 vcc_lo, 0x40f, v11
	s_delay_alu instid0(VALU_DEP_2)
	v_and_or_b32 v4, 0x8000, v5, v4
	s_wait_alu 0xfffd
	v_cndmask_b32_e32 v6, v8, v6, vcc_lo
	v_add_co_u32 v2, vcc_lo, v2, s6
	s_wait_alu 0xfffd
	v_add_co_ci_u32_e32 v3, vcc_lo, s7, v3, vcc_lo
	s_delay_alu instid0(VALU_DEP_3) | instskip(SKIP_1) | instid1(VALU_DEP_1)
	v_and_or_b32 v5, 0x8000, v7, v6
	v_and_b32_e32 v4, 0xffff, v4
	v_lshl_or_b32 v4, v5, 16, v4
	global_store_b32 v[2:3], v4, off
	global_load_b32 v6, v30, s[12:13] offset:780
	ds_load_2addr_b32 v[4:5], v33 offset0:195 offset1:208
	s_wait_dscnt 0x0
	v_lshrrev_b32_e32 v7, 16, v4
	s_wait_loadcnt 0x0
	v_lshrrev_b32_e32 v8, 16, v6
	s_delay_alu instid0(VALU_DEP_1) | instskip(SKIP_1) | instid1(VALU_DEP_2)
	v_mul_f16_e32 v9, v7, v8
	v_mul_f16_e32 v8, v4, v8
	v_fmac_f16_e32 v9, v4, v6
	s_delay_alu instid0(VALU_DEP_2) | instskip(NEXT) | instid1(VALU_DEP_2)
	v_fma_f16 v4, v6, v7, -v8
	v_cvt_f32_f16_e32 v6, v9
	s_delay_alu instid0(VALU_DEP_2) | instskip(NEXT) | instid1(VALU_DEP_2)
	v_cvt_f32_f16_e32 v4, v4
	v_cvt_f64_f32_e32 v[6:7], v6
	s_delay_alu instid0(VALU_DEP_2) | instskip(NEXT) | instid1(VALU_DEP_2)
	v_cvt_f64_f32_e32 v[8:9], v4
	v_mul_f64_e32 v[6:7], s[8:9], v[6:7]
	s_delay_alu instid0(VALU_DEP_2) | instskip(NEXT) | instid1(VALU_DEP_2)
	v_mul_f64_e32 v[8:9], s[8:9], v[8:9]
	v_and_or_b32 v4, 0x1ff, v7, v6
	s_delay_alu instid0(VALU_DEP_2)
	v_and_or_b32 v8, 0x1ff, v9, v8
	v_lshrrev_b32_e32 v6, 8, v7
	v_bfe_u32 v10, v7, 20, 11
	v_lshrrev_b32_e32 v11, 8, v9
	v_cmp_ne_u32_e32 vcc_lo, 0, v4
	v_bfe_u32 v12, v9, 20, 11
	v_lshrrev_b32_e32 v7, 16, v7
	v_sub_nc_u32_e32 v13, 0x3f1, v10
	v_add_nc_u32_e32 v10, 0xfffffc10, v10
	s_wait_alu 0xfffd
	v_cndmask_b32_e64 v4, 0, 1, vcc_lo
	v_cmp_ne_u32_e32 vcc_lo, 0, v8
	v_lshrrev_b32_e32 v9, 16, v9
	s_delay_alu instid0(VALU_DEP_3) | instskip(SKIP_4) | instid1(VALU_DEP_3)
	v_and_or_b32 v4, 0xffe, v6, v4
	s_wait_alu 0xfffd
	v_cndmask_b32_e64 v8, 0, 1, vcc_lo
	v_sub_nc_u32_e32 v6, 0x3f1, v12
	v_add_nc_u32_e32 v12, 0xfffffc10, v12
	v_and_or_b32 v8, 0xffe, v11, v8
	v_med3_i32 v11, v13, 0, 13
	v_or_b32_e32 v13, 0x1000, v4
	v_med3_i32 v6, v6, 0, 13
	s_delay_alu instid0(VALU_DEP_4) | instskip(NEXT) | instid1(VALU_DEP_3)
	v_or_b32_e32 v14, 0x1000, v8
	v_lshrrev_b32_e32 v15, v11, v13
	s_delay_alu instid0(VALU_DEP_2) | instskip(NEXT) | instid1(VALU_DEP_2)
	v_lshrrev_b32_e32 v16, v6, v14
	v_lshlrev_b32_e32 v11, v11, v15
	s_delay_alu instid0(VALU_DEP_2) | instskip(NEXT) | instid1(VALU_DEP_2)
	v_lshlrev_b32_e32 v6, v6, v16
	v_cmp_ne_u32_e32 vcc_lo, v11, v13
	v_lshl_or_b32 v13, v10, 12, v4
	s_wait_alu 0xfffd
	v_cndmask_b32_e64 v11, 0, 1, vcc_lo
	v_cmp_ne_u32_e32 vcc_lo, v6, v14
	v_lshl_or_b32 v14, v12, 12, v8
	s_delay_alu instid0(VALU_DEP_3) | instskip(SKIP_3) | instid1(VALU_DEP_2)
	v_or_b32_e32 v11, v15, v11
	s_wait_alu 0xfffd
	v_cndmask_b32_e64 v6, 0, 1, vcc_lo
	v_cmp_gt_i32_e32 vcc_lo, 1, v10
	v_or_b32_e32 v6, v16, v6
	s_wait_alu 0xfffd
	v_cndmask_b32_e32 v11, v13, v11, vcc_lo
	v_cmp_gt_i32_e32 vcc_lo, 1, v12
	s_wait_alu 0xfffd
	s_delay_alu instid0(VALU_DEP_2) | instskip(SKIP_2) | instid1(VALU_DEP_3)
	v_dual_cndmask_b32 v6, v14, v6 :: v_dual_and_b32 v13, 7, v11
	v_cmp_ne_u32_e32 vcc_lo, 0, v4
	v_lshrrev_b32_e32 v11, 2, v11
	v_cmp_eq_u32_e64 s0, 3, v13
	s_delay_alu instid0(VALU_DEP_4)
	v_and_b32_e32 v14, 7, v6
	s_wait_alu 0xfffd
	v_cndmask_b32_e64 v4, 0, 1, vcc_lo
	v_cmp_ne_u32_e32 vcc_lo, 0, v8
	v_lshrrev_b32_e32 v6, 2, v6
	v_cmp_lt_i32_e64 s1, 5, v14
	v_cmp_eq_u32_e64 s2, 3, v14
	s_wait_alu 0xfffd
	v_cndmask_b32_e64 v8, 0, 1, vcc_lo
	v_cmp_lt_i32_e32 vcc_lo, 5, v13
	v_lshl_or_b32 v4, v4, 9, 0x7c00
	s_delay_alu instid0(VALU_DEP_3)
	v_lshl_or_b32 v8, v8, 9, 0x7c00
	s_or_b32 vcc_lo, s0, vcc_lo
	s_wait_alu 0xfffe
	v_add_co_ci_u32_e32 v11, vcc_lo, 0, v11, vcc_lo
	s_or_b32 vcc_lo, s2, s1
	s_wait_alu 0xfffe
	v_add_co_ci_u32_e32 v6, vcc_lo, 0, v6, vcc_lo
	v_cmp_gt_i32_e32 vcc_lo, 31, v10
	s_wait_alu 0xfffd
	v_cndmask_b32_e32 v11, 0x7c00, v11, vcc_lo
	v_cmp_gt_i32_e32 vcc_lo, 31, v12
	s_wait_alu 0xfffd
	v_cndmask_b32_e32 v6, 0x7c00, v6, vcc_lo
	v_cmp_eq_u32_e32 vcc_lo, 0x40f, v10
	s_wait_alu 0xfffd
	v_cndmask_b32_e32 v4, v11, v4, vcc_lo
	v_cmp_eq_u32_e32 vcc_lo, 0x40f, v12
	s_delay_alu instid0(VALU_DEP_2)
	v_and_or_b32 v4, 0x8000, v7, v4
	s_wait_alu 0xfffd
	v_cndmask_b32_e32 v6, v6, v8, vcc_lo
	v_add_co_u32 v2, vcc_lo, v2, s6
	s_wait_alu 0xfffd
	v_add_co_ci_u32_e32 v3, vcc_lo, s7, v3, vcc_lo
	s_delay_alu instid0(VALU_DEP_3) | instskip(SKIP_1) | instid1(VALU_DEP_1)
	v_and_or_b32 v6, 0x8000, v9, v6
	v_and_b32_e32 v4, 0xffff, v4
	v_lshl_or_b32 v4, v6, 16, v4
	global_store_b32 v[2:3], v4, off
	global_load_b32 v2, v30, s[12:13] offset:832
	v_lshrrev_b32_e32 v3, 16, v5
	s_wait_loadcnt 0x0
	v_lshrrev_b32_e32 v4, 16, v2
	s_delay_alu instid0(VALU_DEP_1) | instskip(SKIP_1) | instid1(VALU_DEP_2)
	v_mul_f16_e32 v6, v3, v4
	v_mul_f16_e32 v4, v5, v4
	v_fmac_f16_e32 v6, v5, v2
	s_delay_alu instid0(VALU_DEP_2) | instskip(NEXT) | instid1(VALU_DEP_2)
	v_fma_f16 v2, v2, v3, -v4
	v_cvt_f32_f16_e32 v3, v6
	s_delay_alu instid0(VALU_DEP_2) | instskip(NEXT) | instid1(VALU_DEP_2)
	v_cvt_f32_f16_e32 v4, v2
	v_cvt_f64_f32_e32 v[2:3], v3
	s_delay_alu instid0(VALU_DEP_2) | instskip(NEXT) | instid1(VALU_DEP_2)
	v_cvt_f64_f32_e32 v[4:5], v4
	v_mul_f64_e32 v[2:3], s[8:9], v[2:3]
	s_delay_alu instid0(VALU_DEP_2) | instskip(NEXT) | instid1(VALU_DEP_2)
	v_mul_f64_e32 v[4:5], s[8:9], v[4:5]
	v_and_or_b32 v2, 0x1ff, v3, v2
	s_delay_alu instid0(VALU_DEP_2)
	v_and_or_b32 v4, 0x1ff, v5, v4
	v_lshrrev_b32_e32 v6, 8, v3
	v_bfe_u32 v8, v3, 20, 11
	v_bfe_u32 v9, v5, 20, 11
	v_cmp_ne_u32_e32 vcc_lo, 0, v2
	v_lshrrev_b32_e32 v7, 8, v5
	v_lshrrev_b32_e32 v5, 16, v5
	v_sub_nc_u32_e32 v10, 0x3f1, v8
	v_sub_nc_u32_e32 v11, 0x3f1, v9
	s_wait_alu 0xfffd
	v_cndmask_b32_e64 v2, 0, 1, vcc_lo
	v_cmp_ne_u32_e32 vcc_lo, 0, v4
	v_add_nc_u32_e32 v9, 0xfffffc10, v9
	s_delay_alu instid0(VALU_DEP_3)
	v_and_or_b32 v12, 0xffe, v6, v2
	s_wait_alu 0xfffd
	v_cndmask_b32_e64 v4, 0, 1, vcc_lo
	v_med3_i32 v2, v10, 0, 13
	v_med3_i32 v10, v11, 0, 13
	v_or_b32_e32 v11, 0x1000, v12
	s_delay_alu instid0(VALU_DEP_4) | instskip(SKIP_1) | instid1(VALU_DEP_3)
	v_and_or_b32 v4, 0xffe, v7, v4
	v_mad_co_u64_u32 v[6:7], null, s4, v29, 0
	v_lshrrev_b32_e32 v14, v2, v11
	s_delay_alu instid0(VALU_DEP_3) | instskip(NEXT) | instid1(VALU_DEP_2)
	v_or_b32_e32 v13, 0x1000, v4
	v_lshlrev_b32_e32 v16, v2, v14
	s_delay_alu instid0(VALU_DEP_2) | instskip(SKIP_1) | instid1(VALU_DEP_3)
	v_lshrrev_b32_e32 v15, v10, v13
	v_mov_b32_e32 v2, v7
	v_cmp_ne_u32_e32 vcc_lo, v16, v11
	s_delay_alu instid0(VALU_DEP_3) | instskip(SKIP_3) | instid1(VALU_DEP_3)
	v_lshlrev_b32_e32 v7, v10, v15
	v_add_nc_u32_e32 v10, 0xfffffc10, v8
	s_wait_alu 0xfffd
	v_cndmask_b32_e64 v11, 0, 1, vcc_lo
	v_cmp_ne_u32_e32 vcc_lo, v7, v13
	v_mad_co_u64_u32 v[7:8], null, s5, v29, v[2:3]
	v_lshl_or_b32 v2, v10, 12, v12
	s_delay_alu instid0(VALU_DEP_4)
	v_or_b32_e32 v8, v14, v11
	s_wait_alu 0xfffd
	v_cndmask_b32_e64 v13, 0, 1, vcc_lo
	v_cmp_gt_i32_e32 vcc_lo, 1, v10
	v_lshl_or_b32 v11, v9, 12, v4
	v_lshrrev_b32_e32 v3, 16, v3
	s_delay_alu instid0(VALU_DEP_4)
	v_or_b32_e32 v13, v15, v13
	s_wait_alu 0xfffd
	v_cndmask_b32_e32 v2, v2, v8, vcc_lo
	v_cmp_gt_i32_e32 vcc_lo, 1, v9
	s_wait_alu 0xfffd
	v_cndmask_b32_e32 v8, v11, v13, vcc_lo
	v_cmp_ne_u32_e32 vcc_lo, 0, v12
	v_and_b32_e32 v12, 7, v2
	v_lshrrev_b32_e32 v2, 2, v2
	s_delay_alu instid0(VALU_DEP_4)
	v_and_b32_e32 v13, 7, v8
	s_wait_alu 0xfffd
	v_cndmask_b32_e64 v11, 0, 1, vcc_lo
	v_cmp_ne_u32_e32 vcc_lo, 0, v4
	v_cmp_eq_u32_e64 s0, 3, v12
	v_lshrrev_b32_e32 v8, 2, v8
	v_cmp_lt_i32_e64 s1, 5, v13
	v_cmp_eq_u32_e64 s2, 3, v13
	s_wait_alu 0xfffd
	v_cndmask_b32_e64 v4, 0, 1, vcc_lo
	v_cmp_lt_i32_e32 vcc_lo, 5, v12
	v_lshl_or_b32 v11, v11, 9, 0x7c00
	s_delay_alu instid0(VALU_DEP_3)
	v_lshl_or_b32 v4, v4, 9, 0x7c00
	s_or_b32 vcc_lo, s0, vcc_lo
	s_wait_alu 0xfffe
	v_add_co_ci_u32_e32 v2, vcc_lo, 0, v2, vcc_lo
	s_or_b32 vcc_lo, s2, s1
	s_wait_alu 0xfffe
	v_add_co_ci_u32_e32 v8, vcc_lo, 0, v8, vcc_lo
	v_cmp_gt_i32_e32 vcc_lo, 31, v10
	s_wait_alu 0xfffd
	v_cndmask_b32_e32 v2, 0x7c00, v2, vcc_lo
	v_cmp_gt_i32_e32 vcc_lo, 31, v9
	s_wait_alu 0xfffd
	v_cndmask_b32_e32 v8, 0x7c00, v8, vcc_lo
	v_cmp_eq_u32_e32 vcc_lo, 0x40f, v10
	s_wait_alu 0xfffd
	v_cndmask_b32_e32 v2, v2, v11, vcc_lo
	v_cmp_eq_u32_e32 vcc_lo, 0x40f, v9
	s_delay_alu instid0(VALU_DEP_2) | instskip(SKIP_2) | instid1(VALU_DEP_1)
	v_and_or_b32 v2, 0x8000, v3, v2
	s_wait_alu 0xfffd
	v_cndmask_b32_e32 v4, v8, v4, vcc_lo
	v_and_or_b32 v4, 0x8000, v5, v4
	s_delay_alu instid0(VALU_DEP_3) | instskip(SKIP_1) | instid1(VALU_DEP_2)
	v_and_b32_e32 v5, 0xffff, v2
	v_lshlrev_b64_e32 v[2:3], 2, v[6:7]
	v_lshl_or_b32 v4, v4, 16, v5
	s_delay_alu instid0(VALU_DEP_2) | instskip(SKIP_1) | instid1(VALU_DEP_3)
	v_add_co_u32 v0, vcc_lo, v0, v2
	s_wait_alu 0xfffd
	v_add_co_ci_u32_e32 v1, vcc_lo, v1, v3, vcc_lo
	global_store_b32 v[0:1], v4, off
.LBB0_15:
	s_nop 0
	s_sendmsg sendmsg(MSG_DEALLOC_VGPRS)
	s_endpgm
	.section	.rodata,"a",@progbits
	.p2align	6, 0x0
	.amdhsa_kernel bluestein_single_fwd_len221_dim1_half_op_CI_CI
		.amdhsa_group_segment_fixed_size 6188
		.amdhsa_private_segment_fixed_size 0
		.amdhsa_kernarg_size 104
		.amdhsa_user_sgpr_count 2
		.amdhsa_user_sgpr_dispatch_ptr 0
		.amdhsa_user_sgpr_queue_ptr 0
		.amdhsa_user_sgpr_kernarg_segment_ptr 1
		.amdhsa_user_sgpr_dispatch_id 0
		.amdhsa_user_sgpr_private_segment_size 0
		.amdhsa_wavefront_size32 1
		.amdhsa_uses_dynamic_stack 0
		.amdhsa_enable_private_segment 0
		.amdhsa_system_sgpr_workgroup_id_x 1
		.amdhsa_system_sgpr_workgroup_id_y 0
		.amdhsa_system_sgpr_workgroup_id_z 0
		.amdhsa_system_sgpr_workgroup_info 0
		.amdhsa_system_vgpr_workitem_id 0
		.amdhsa_next_free_vgpr 229
		.amdhsa_next_free_sgpr 16
		.amdhsa_reserve_vcc 1
		.amdhsa_float_round_mode_32 0
		.amdhsa_float_round_mode_16_64 0
		.amdhsa_float_denorm_mode_32 3
		.amdhsa_float_denorm_mode_16_64 3
		.amdhsa_fp16_overflow 0
		.amdhsa_workgroup_processor_mode 1
		.amdhsa_memory_ordered 1
		.amdhsa_forward_progress 0
		.amdhsa_round_robin_scheduling 0
		.amdhsa_exception_fp_ieee_invalid_op 0
		.amdhsa_exception_fp_denorm_src 0
		.amdhsa_exception_fp_ieee_div_zero 0
		.amdhsa_exception_fp_ieee_overflow 0
		.amdhsa_exception_fp_ieee_underflow 0
		.amdhsa_exception_fp_ieee_inexact 0
		.amdhsa_exception_int_div_zero 0
	.end_amdhsa_kernel
	.text
.Lfunc_end0:
	.size	bluestein_single_fwd_len221_dim1_half_op_CI_CI, .Lfunc_end0-bluestein_single_fwd_len221_dim1_half_op_CI_CI
                                        ; -- End function
	.section	.AMDGPU.csdata,"",@progbits
; Kernel info:
; codeLenInByte = 34964
; NumSgprs: 18
; NumVgprs: 229
; ScratchSize: 0
; MemoryBound: 0
; FloatMode: 240
; IeeeMode: 1
; LDSByteSize: 6188 bytes/workgroup (compile time only)
; SGPRBlocks: 2
; VGPRBlocks: 28
; NumSGPRsForWavesPerEU: 18
; NumVGPRsForWavesPerEU: 229
; Occupancy: 6
; WaveLimiterHint : 1
; COMPUTE_PGM_RSRC2:SCRATCH_EN: 0
; COMPUTE_PGM_RSRC2:USER_SGPR: 2
; COMPUTE_PGM_RSRC2:TRAP_HANDLER: 0
; COMPUTE_PGM_RSRC2:TGID_X_EN: 1
; COMPUTE_PGM_RSRC2:TGID_Y_EN: 0
; COMPUTE_PGM_RSRC2:TGID_Z_EN: 0
; COMPUTE_PGM_RSRC2:TIDIG_COMP_CNT: 0
	.text
	.p2alignl 7, 3214868480
	.fill 96, 4, 3214868480
	.type	__hip_cuid_eeed61db8249600c,@object ; @__hip_cuid_eeed61db8249600c
	.section	.bss,"aw",@nobits
	.globl	__hip_cuid_eeed61db8249600c
__hip_cuid_eeed61db8249600c:
	.byte	0                               ; 0x0
	.size	__hip_cuid_eeed61db8249600c, 1

	.ident	"AMD clang version 19.0.0git (https://github.com/RadeonOpenCompute/llvm-project roc-6.4.0 25133 c7fe45cf4b819c5991fe208aaa96edf142730f1d)"
	.section	".note.GNU-stack","",@progbits
	.addrsig
	.addrsig_sym __hip_cuid_eeed61db8249600c
	.amdgpu_metadata
---
amdhsa.kernels:
  - .args:
      - .actual_access:  read_only
        .address_space:  global
        .offset:         0
        .size:           8
        .value_kind:     global_buffer
      - .actual_access:  read_only
        .address_space:  global
        .offset:         8
        .size:           8
        .value_kind:     global_buffer
      - .actual_access:  read_only
        .address_space:  global
        .offset:         16
        .size:           8
        .value_kind:     global_buffer
      - .actual_access:  read_only
        .address_space:  global
        .offset:         24
        .size:           8
        .value_kind:     global_buffer
      - .actual_access:  read_only
        .address_space:  global
        .offset:         32
        .size:           8
        .value_kind:     global_buffer
      - .offset:         40
        .size:           8
        .value_kind:     by_value
      - .address_space:  global
        .offset:         48
        .size:           8
        .value_kind:     global_buffer
      - .address_space:  global
        .offset:         56
        .size:           8
        .value_kind:     global_buffer
      - .address_space:  global
        .offset:         64
        .size:           8
        .value_kind:     global_buffer
      - .address_space:  global
        .offset:         72
        .size:           8
        .value_kind:     global_buffer
      - .offset:         80
        .size:           4
        .value_kind:     by_value
      - .address_space:  global
        .offset:         88
        .size:           8
        .value_kind:     global_buffer
      - .address_space:  global
        .offset:         96
        .size:           8
        .value_kind:     global_buffer
    .group_segment_fixed_size: 6188
    .kernarg_segment_align: 8
    .kernarg_segment_size: 104
    .language:       OpenCL C
    .language_version:
      - 2
      - 0
    .max_flat_workgroup_size: 119
    .name:           bluestein_single_fwd_len221_dim1_half_op_CI_CI
    .private_segment_fixed_size: 0
    .sgpr_count:     18
    .sgpr_spill_count: 0
    .symbol:         bluestein_single_fwd_len221_dim1_half_op_CI_CI.kd
    .uniform_work_group_size: 1
    .uses_dynamic_stack: false
    .vgpr_count:     229
    .vgpr_spill_count: 0
    .wavefront_size: 32
    .workgroup_processor_mode: 1
amdhsa.target:   amdgcn-amd-amdhsa--gfx1201
amdhsa.version:
  - 1
  - 2
...

	.end_amdgpu_metadata
